;; amdgpu-corpus repo=ROCm/rocFFT kind=compiled arch=gfx1030 opt=O3
	.text
	.amdgcn_target "amdgcn-amd-amdhsa--gfx1030"
	.amdhsa_code_object_version 6
	.protected	fft_rtc_back_len1200_factors_5_5_16_3_wgs_225_tpt_75_halfLds_sp_op_CI_CI_sbrr_dirReg ; -- Begin function fft_rtc_back_len1200_factors_5_5_16_3_wgs_225_tpt_75_halfLds_sp_op_CI_CI_sbrr_dirReg
	.globl	fft_rtc_back_len1200_factors_5_5_16_3_wgs_225_tpt_75_halfLds_sp_op_CI_CI_sbrr_dirReg
	.p2align	8
	.type	fft_rtc_back_len1200_factors_5_5_16_3_wgs_225_tpt_75_halfLds_sp_op_CI_CI_sbrr_dirReg,@function
fft_rtc_back_len1200_factors_5_5_16_3_wgs_225_tpt_75_halfLds_sp_op_CI_CI_sbrr_dirReg: ; @fft_rtc_back_len1200_factors_5_5_16_3_wgs_225_tpt_75_halfLds_sp_op_CI_CI_sbrr_dirReg
; %bb.0:
	s_clause 0x1
	s_load_dwordx4 s[16:19], s[4:5], 0x18
	s_load_dwordx4 s[8:11], s[4:5], 0x0
	v_mul_u32_u24_e32 v1, 0x36a, v0
	v_mov_b32_e32 v3, 0
	v_mov_b32_e32 v10, 0
	v_mov_b32_e32 v11, 0
	s_load_dwordx4 s[12:15], s[4:5], 0x58
	s_waitcnt lgkmcnt(0)
	s_load_dwordx2 s[20:21], s[16:17], 0x0
	s_load_dwordx2 s[2:3], s[18:19], 0x0
	v_lshrrev_b32_e32 v1, 16, v1
	v_cmp_lt_u64_e64 s0, s[10:11], 2
	v_mov_b32_e32 v17, v11
	v_mov_b32_e32 v16, v10
	v_mad_u64_u32 v[1:2], null, s6, 3, v[1:2]
	v_mov_b32_e32 v2, v3
	s_and_b32 vcc_lo, exec_lo, s0
	v_mov_b32_e32 v19, v2
	v_mov_b32_e32 v18, v1
	s_cbranch_vccnz .LBB0_8
; %bb.1:
	s_load_dwordx2 s[0:1], s[4:5], 0x10
	v_mov_b32_e32 v10, 0
	v_mov_b32_e32 v11, 0
	s_add_u32 s6, s18, 8
	v_mov_b32_e32 v6, v2
	s_addc_u32 s7, s19, 0
	v_mov_b32_e32 v5, v1
	v_mov_b32_e32 v17, v11
	s_add_u32 s22, s16, 8
	v_mov_b32_e32 v16, v10
	s_addc_u32 s23, s17, 0
	s_mov_b64 s[26:27], 1
	s_waitcnt lgkmcnt(0)
	s_add_u32 s24, s0, 8
	s_addc_u32 s25, s1, 0
.LBB0_2:                                ; =>This Inner Loop Header: Depth=1
	s_load_dwordx2 s[28:29], s[24:25], 0x0
                                        ; implicit-def: $vgpr18_vgpr19
	s_mov_b32 s0, exec_lo
	s_waitcnt lgkmcnt(0)
	v_or_b32_e32 v4, s29, v6
	v_cmpx_ne_u64_e32 0, v[3:4]
	s_xor_b32 s1, exec_lo, s0
	s_cbranch_execz .LBB0_4
; %bb.3:                                ;   in Loop: Header=BB0_2 Depth=1
	v_cvt_f32_u32_e32 v2, s28
	v_cvt_f32_u32_e32 v4, s29
	s_sub_u32 s0, 0, s28
	s_subb_u32 s30, 0, s29
	v_fmac_f32_e32 v2, 0x4f800000, v4
	v_rcp_f32_e32 v2, v2
	v_mul_f32_e32 v2, 0x5f7ffffc, v2
	v_mul_f32_e32 v4, 0x2f800000, v2
	v_trunc_f32_e32 v4, v4
	v_fmac_f32_e32 v2, 0xcf800000, v4
	v_cvt_u32_f32_e32 v4, v4
	v_cvt_u32_f32_e32 v2, v2
	v_mul_lo_u32 v7, s0, v4
	v_mul_hi_u32 v8, s0, v2
	v_mul_lo_u32 v9, s30, v2
	v_add_nc_u32_e32 v7, v8, v7
	v_mul_lo_u32 v8, s0, v2
	v_add_nc_u32_e32 v7, v7, v9
	v_mul_hi_u32 v9, v2, v8
	v_mul_lo_u32 v12, v2, v7
	v_mul_hi_u32 v13, v2, v7
	v_mul_hi_u32 v14, v4, v8
	v_mul_lo_u32 v8, v4, v8
	v_mul_hi_u32 v15, v4, v7
	v_mul_lo_u32 v7, v4, v7
	v_add_co_u32 v9, vcc_lo, v9, v12
	v_add_co_ci_u32_e32 v12, vcc_lo, 0, v13, vcc_lo
	v_add_co_u32 v8, vcc_lo, v9, v8
	v_add_co_ci_u32_e32 v8, vcc_lo, v12, v14, vcc_lo
	v_add_co_ci_u32_e32 v9, vcc_lo, 0, v15, vcc_lo
	v_add_co_u32 v7, vcc_lo, v8, v7
	v_add_co_ci_u32_e32 v8, vcc_lo, 0, v9, vcc_lo
	v_add_co_u32 v2, vcc_lo, v2, v7
	v_add_co_ci_u32_e32 v4, vcc_lo, v4, v8, vcc_lo
	v_mul_hi_u32 v7, s0, v2
	v_mul_lo_u32 v9, s30, v2
	v_mul_lo_u32 v8, s0, v4
	v_add_nc_u32_e32 v7, v7, v8
	v_mul_lo_u32 v8, s0, v2
	v_add_nc_u32_e32 v7, v7, v9
	v_mul_hi_u32 v9, v2, v8
	v_mul_lo_u32 v12, v2, v7
	v_mul_hi_u32 v13, v2, v7
	v_mul_hi_u32 v14, v4, v8
	v_mul_lo_u32 v8, v4, v8
	v_mul_hi_u32 v15, v4, v7
	v_mul_lo_u32 v7, v4, v7
	v_add_co_u32 v9, vcc_lo, v9, v12
	v_add_co_ci_u32_e32 v12, vcc_lo, 0, v13, vcc_lo
	v_add_co_u32 v8, vcc_lo, v9, v8
	v_add_co_ci_u32_e32 v8, vcc_lo, v12, v14, vcc_lo
	v_add_co_ci_u32_e32 v9, vcc_lo, 0, v15, vcc_lo
	v_add_co_u32 v7, vcc_lo, v8, v7
	v_add_co_ci_u32_e32 v8, vcc_lo, 0, v9, vcc_lo
	v_add_co_u32 v2, vcc_lo, v2, v7
	v_add_co_ci_u32_e32 v4, vcc_lo, v4, v8, vcc_lo
	v_mul_hi_u32 v9, v5, v2
	v_mad_u64_u32 v[12:13], null, v6, v2, 0
	v_mad_u64_u32 v[7:8], null, v5, v4, 0
	v_mad_u64_u32 v[14:15], null, v6, v4, 0
	v_add_co_u32 v2, vcc_lo, v9, v7
	v_add_co_ci_u32_e32 v4, vcc_lo, 0, v8, vcc_lo
	v_add_co_u32 v2, vcc_lo, v2, v12
	v_add_co_ci_u32_e32 v2, vcc_lo, v4, v13, vcc_lo
	v_add_co_ci_u32_e32 v4, vcc_lo, 0, v15, vcc_lo
	v_add_co_u32 v2, vcc_lo, v2, v14
	v_add_co_ci_u32_e32 v4, vcc_lo, 0, v4, vcc_lo
	v_mul_lo_u32 v9, s29, v2
	v_mad_u64_u32 v[7:8], null, s28, v2, 0
	v_mul_lo_u32 v12, s28, v4
	v_sub_co_u32 v7, vcc_lo, v5, v7
	v_add3_u32 v8, v8, v12, v9
	v_sub_nc_u32_e32 v9, v6, v8
	v_subrev_co_ci_u32_e64 v9, s0, s29, v9, vcc_lo
	v_add_co_u32 v12, s0, v2, 2
	v_add_co_ci_u32_e64 v13, s0, 0, v4, s0
	v_sub_co_u32 v14, s0, v7, s28
	v_sub_co_ci_u32_e32 v8, vcc_lo, v6, v8, vcc_lo
	v_subrev_co_ci_u32_e64 v9, s0, 0, v9, s0
	v_cmp_le_u32_e32 vcc_lo, s28, v14
	v_cmp_eq_u32_e64 s0, s29, v8
	v_cndmask_b32_e64 v14, 0, -1, vcc_lo
	v_cmp_le_u32_e32 vcc_lo, s29, v9
	v_cndmask_b32_e64 v15, 0, -1, vcc_lo
	v_cmp_le_u32_e32 vcc_lo, s28, v7
	;; [unrolled: 2-line block ×3, first 2 shown]
	v_cndmask_b32_e64 v18, 0, -1, vcc_lo
	v_cmp_eq_u32_e32 vcc_lo, s29, v9
	v_cndmask_b32_e64 v7, v18, v7, s0
	v_cndmask_b32_e32 v9, v15, v14, vcc_lo
	v_add_co_u32 v14, vcc_lo, v2, 1
	v_add_co_ci_u32_e32 v15, vcc_lo, 0, v4, vcc_lo
	v_cmp_ne_u32_e32 vcc_lo, 0, v9
	v_cndmask_b32_e32 v8, v15, v13, vcc_lo
	v_cndmask_b32_e32 v9, v14, v12, vcc_lo
	v_cmp_ne_u32_e32 vcc_lo, 0, v7
	v_cndmask_b32_e32 v19, v4, v8, vcc_lo
	v_cndmask_b32_e32 v18, v2, v9, vcc_lo
.LBB0_4:                                ;   in Loop: Header=BB0_2 Depth=1
	s_andn2_saveexec_b32 s0, s1
	s_cbranch_execz .LBB0_6
; %bb.5:                                ;   in Loop: Header=BB0_2 Depth=1
	v_cvt_f32_u32_e32 v2, s28
	s_sub_i32 s1, 0, s28
	v_mov_b32_e32 v19, v3
	v_rcp_iflag_f32_e32 v2, v2
	v_mul_f32_e32 v2, 0x4f7ffffe, v2
	v_cvt_u32_f32_e32 v2, v2
	v_mul_lo_u32 v4, s1, v2
	v_mul_hi_u32 v4, v2, v4
	v_add_nc_u32_e32 v2, v2, v4
	v_mul_hi_u32 v2, v5, v2
	v_mul_lo_u32 v4, v2, s28
	v_add_nc_u32_e32 v7, 1, v2
	v_sub_nc_u32_e32 v4, v5, v4
	v_subrev_nc_u32_e32 v8, s28, v4
	v_cmp_le_u32_e32 vcc_lo, s28, v4
	v_cndmask_b32_e32 v4, v4, v8, vcc_lo
	v_cndmask_b32_e32 v2, v2, v7, vcc_lo
	v_cmp_le_u32_e32 vcc_lo, s28, v4
	v_add_nc_u32_e32 v7, 1, v2
	v_cndmask_b32_e32 v18, v2, v7, vcc_lo
.LBB0_6:                                ;   in Loop: Header=BB0_2 Depth=1
	s_or_b32 exec_lo, exec_lo, s0
	v_mul_lo_u32 v2, v19, s28
	v_mul_lo_u32 v4, v18, s29
	s_load_dwordx2 s[0:1], s[22:23], 0x0
	v_mad_u64_u32 v[7:8], null, v18, s28, 0
	s_load_dwordx2 s[28:29], s[6:7], 0x0
	s_add_u32 s26, s26, 1
	s_addc_u32 s27, s27, 0
	s_add_u32 s6, s6, 8
	s_addc_u32 s7, s7, 0
	s_add_u32 s22, s22, 8
	v_add3_u32 v2, v8, v4, v2
	v_sub_co_u32 v4, vcc_lo, v5, v7
	s_addc_u32 s23, s23, 0
	s_add_u32 s24, s24, 8
	v_sub_co_ci_u32_e32 v2, vcc_lo, v6, v2, vcc_lo
	s_addc_u32 s25, s25, 0
	s_waitcnt lgkmcnt(0)
	v_mul_lo_u32 v5, s0, v2
	v_mul_lo_u32 v6, s1, v4
	v_mad_u64_u32 v[10:11], null, s0, v4, v[10:11]
	v_mul_lo_u32 v2, s28, v2
	v_mul_lo_u32 v7, s29, v4
	v_mad_u64_u32 v[16:17], null, s28, v4, v[16:17]
	v_cmp_ge_u64_e64 s0, s[26:27], s[10:11]
	v_add3_u32 v11, v6, v11, v5
	v_add3_u32 v17, v7, v17, v2
	s_and_b32 vcc_lo, exec_lo, s0
	s_cbranch_vccnz .LBB0_8
; %bb.7:                                ;   in Loop: Header=BB0_2 Depth=1
	v_mov_b32_e32 v5, v18
	v_mov_b32_e32 v6, v19
	s_branch .LBB0_2
.LBB0_8:
	s_load_dwordx2 s[0:1], s[4:5], 0x28
	v_mul_hi_u32 v2, 0x369d037, v0
	s_lshl_b64 s[6:7], s[10:11], 3
                                        ; implicit-def: $vgpr62
                                        ; implicit-def: $vgpr63
                                        ; implicit-def: $vgpr64
	s_add_u32 s4, s18, s6
	s_addc_u32 s5, s19, s7
	s_waitcnt lgkmcnt(0)
	v_cmp_gt_u64_e32 vcc_lo, s[0:1], v[18:19]
	v_cmp_le_u64_e64 s0, s[0:1], v[18:19]
	s_and_saveexec_b32 s1, s0
	s_xor_b32 s0, exec_lo, s1
; %bb.9:
	v_mul_u32_u24_e32 v2, 0x4b, v2
                                        ; implicit-def: $vgpr10_vgpr11
	v_sub_nc_u32_e32 v62, v0, v2
                                        ; implicit-def: $vgpr2
                                        ; implicit-def: $vgpr0
	v_add_nc_u32_e32 v63, 0x4b, v62
	v_add_nc_u32_e32 v64, 0x96, v62
; %bb.10:
	s_or_saveexec_b32 s1, s0
	s_load_dwordx2 s[4:5], s[4:5], 0x0
                                        ; implicit-def: $vgpr3
                                        ; implicit-def: $vgpr27
                                        ; implicit-def: $vgpr29
                                        ; implicit-def: $vgpr13
                                        ; implicit-def: $vgpr43
                                        ; implicit-def: $vgpr5
                                        ; implicit-def: $vgpr31
                                        ; implicit-def: $vgpr33
                                        ; implicit-def: $vgpr49
                                        ; implicit-def: $vgpr53
                                        ; implicit-def: $vgpr7
                                        ; implicit-def: $vgpr35
                                        ; implicit-def: $vgpr37
                                        ; implicit-def: $vgpr39
                                        ; implicit-def: $vgpr41
                                        ; implicit-def: $vgpr51
                                        ; implicit-def: $vgpr59
                                        ; implicit-def: $vgpr57
                                        ; implicit-def: $vgpr55
                                        ; implicit-def: $vgpr9
	s_xor_b32 exec_lo, exec_lo, s1
	s_cbranch_execz .LBB0_14
; %bb.11:
	s_add_u32 s6, s16, s6
	s_addc_u32 s7, s17, s7
	v_mul_u32_u24_e32 v2, 0x4b, v2
	s_load_dwordx2 s[6:7], s[6:7], 0x0
                                        ; implicit-def: $vgpr54
                                        ; implicit-def: $vgpr56
                                        ; implicit-def: $vgpr58
                                        ; implicit-def: $vgpr50
	v_sub_nc_u32_e32 v62, v0, v2
	v_lshlrev_b64 v[2:3], 3, v[10:11]
	v_mad_u64_u32 v[4:5], null, s20, v62, 0
	v_add_nc_u32_e32 v22, 0xf0, v62
	v_add_nc_u32_e32 v24, 0x1e0, v62
	;; [unrolled: 1-line block ×5, first 2 shown]
	v_mad_u64_u32 v[6:7], null, s20, v22, 0
	v_mov_b32_e32 v0, v5
	v_mad_u64_u32 v[10:11], null, s20, v24, 0
	s_waitcnt lgkmcnt(0)
	v_mul_lo_u32 v5, s7, v18
	v_mul_lo_u32 v23, s6, v19
	v_mad_u64_u32 v[8:9], null, s6, v18, 0
	v_mad_u64_u32 v[14:15], null, s21, v62, v[0:1]
	v_mov_b32_e32 v0, v7
	v_mad_u64_u32 v[12:13], null, s20, v25, 0
	v_mov_b32_e32 v7, v11
	v_add3_u32 v9, v9, v23, v5
	v_mad_u64_u32 v[22:23], null, s21, v22, v[0:1]
	v_mov_b32_e32 v5, v14
	v_mad_u64_u32 v[20:21], null, s20, v26, 0
	v_lshlrev_b64 v[8:9], 3, v[8:9]
	v_mov_b32_e32 v11, v13
	v_lshlrev_b64 v[4:5], 3, v[4:5]
	v_add_nc_u32_e32 v30, 0x13b, v62
	v_add_nc_u32_e32 v64, 0x96, v62
	;; [unrolled: 1-line block ×3, first 2 shown]
	v_add_co_u32 v0, s0, s12, v8
	v_mad_u64_u32 v[13:14], null, s21, v24, v[7:8]
	v_add_co_ci_u32_e64 v8, s0, s13, v9, s0
	v_mov_b32_e32 v7, v22
	v_mad_u64_u32 v[14:15], null, s21, v25, v[11:12]
	v_add_co_u32 v0, s0, v0, v2
	v_add_co_ci_u32_e64 v9, s0, v8, v3, s0
	v_lshlrev_b64 v[2:3], 3, v[6:7]
	v_add_co_u32 v4, s0, v0, v4
	v_mov_b32_e32 v11, v13
	v_mov_b32_e32 v13, v14
	v_mad_u64_u32 v[14:15], null, s20, v63, 0
	v_add_co_ci_u32_e64 v5, s0, v9, v5, s0
	v_add_co_u32 v6, s0, v0, v2
	v_mov_b32_e32 v2, v21
	v_lshlrev_b64 v[10:11], 3, v[10:11]
	v_add_co_ci_u32_e64 v7, s0, v9, v3, s0
	v_lshlrev_b64 v[12:13], 3, v[12:13]
	v_mad_u64_u32 v[2:3], null, s21, v26, v[2:3]
	v_mov_b32_e32 v3, v15
	v_add_co_u32 v10, s0, v0, v10
	v_add_co_ci_u32_e64 v11, s0, v9, v11, s0
	v_mad_u64_u32 v[24:25], null, s21, v63, v[3:4]
	v_mad_u64_u32 v[22:23], null, s20, v30, 0
	v_add_nc_u32_e32 v25, 0x22b, v62
	v_add_co_u32 v12, s0, v0, v12
	v_add_co_ci_u32_e64 v13, s0, v9, v13, s0
	v_mov_b32_e32 v21, v2
	s_clause 0x3
	global_load_dwordx2 v[2:3], v[4:5], off
	global_load_dwordx2 v[26:27], v[6:7], off
	;; [unrolled: 1-line block ×4, first 2 shown]
	v_mad_u64_u32 v[7:8], null, s20, v25, 0
	v_mov_b32_e32 v6, v23
	v_mov_b32_e32 v15, v24
	v_add_nc_u32_e32 v24, 0x31b, v62
	v_lshlrev_b64 v[4:5], 3, v[20:21]
	v_add_nc_u32_e32 v36, 0x276, v62
	v_add_nc_u32_e32 v39, 0x366, v62
	v_mad_u64_u32 v[10:11], null, s21, v30, v[6:7]
	v_mov_b32_e32 v6, v8
	v_mad_u64_u32 v[20:21], null, s20, v24, 0
	v_add_nc_u32_e32 v30, 0x40b, v62
	v_lshlrev_b64 v[14:15], 3, v[14:15]
	v_add_co_u32 v4, s0, v0, v4
	v_mov_b32_e32 v23, v10
	v_mad_u64_u32 v[10:11], null, s21, v25, v[6:7]
	v_mov_b32_e32 v6, v21
	v_add_co_ci_u32_e64 v5, s0, v9, v5, s0
	v_add_co_u32 v14, s0, v0, v14
	v_add_co_ci_u32_e64 v15, s0, v9, v15, s0
	v_mov_b32_e32 v8, v10
	v_lshlrev_b64 v[10:11], 3, v[22:23]
	v_mad_u64_u32 v[22:23], null, s20, v30, 0
	v_add_nc_u32_e32 v40, 0x456, v62
	v_lshlrev_b64 v[7:8], 3, v[7:8]
	s_mov_b32 s6, exec_lo
	v_add_co_u32 v10, s0, v0, v10
	v_add_co_ci_u32_e64 v11, s0, v9, v11, s0
	v_mad_u64_u32 v[24:25], null, s21, v24, v[6:7]
	v_mov_b32_e32 v6, v23
	v_add_co_u32 v7, s0, v0, v7
	v_add_co_ci_u32_e64 v8, s0, v9, v8, s0
	v_mov_b32_e32 v21, v24
	v_mad_u64_u32 v[23:24], null, s21, v30, v[6:7]
	v_mad_u64_u32 v[24:25], null, s20, v64, 0
	s_clause 0x3
	global_load_dwordx2 v[42:43], v[4:5], off
	global_load_dwordx2 v[4:5], v[14:15], off
	;; [unrolled: 1-line block ×4, first 2 shown]
	v_mad_u64_u32 v[10:11], null, s20, v34, 0
	v_lshlrev_b64 v[6:7], 3, v[20:21]
	v_mad_u64_u32 v[20:21], null, s20, v36, 0
	v_mov_b32_e32 v8, v25
	v_lshlrev_b64 v[22:23], 3, v[22:23]
	v_add_co_u32 v6, s0, v0, v6
	v_mad_u64_u32 v[14:15], null, s21, v64, v[8:9]
	v_mov_b32_e32 v8, v11
	v_add_co_ci_u32_e64 v7, s0, v9, v7, s0
	v_add_co_u32 v22, s0, v0, v22
	v_add_co_ci_u32_e64 v23, s0, v9, v23, s0
	v_mov_b32_e32 v25, v14
	v_mad_u64_u32 v[14:15], null, s21, v34, v[8:9]
	v_mad_u64_u32 v[34:35], null, s20, v39, 0
	v_mov_b32_e32 v8, v21
	v_lshlrev_b64 v[24:25], 3, v[24:25]
	v_mov_b32_e32 v11, v14
	v_mad_u64_u32 v[36:37], null, s21, v36, v[8:9]
	v_mad_u64_u32 v[37:38], null, s20, v40, 0
	v_mov_b32_e32 v8, v35
	v_lshlrev_b64 v[10:11], 3, v[10:11]
	v_add_co_u32 v24, s0, v0, v24
	v_mov_b32_e32 v21, v36
	v_mad_u64_u32 v[14:15], null, s21, v39, v[8:9]
	v_mov_b32_e32 v8, v38
	v_add_co_ci_u32_e64 v25, s0, v9, v25, s0
	v_lshlrev_b64 v[20:21], 3, v[20:21]
	v_add_co_u32 v10, s0, v0, v10
	v_mad_u64_u32 v[38:39], null, s21, v40, v[8:9]
	v_mov_b32_e32 v35, v14
	v_add_co_ci_u32_e64 v11, s0, v9, v11, s0
	v_add_co_u32 v20, s0, v0, v20
	v_lshlrev_b64 v[14:15], 3, v[34:35]
	v_lshlrev_b64 v[34:35], 3, v[37:38]
	v_add_co_ci_u32_e64 v21, s0, v9, v21, s0
                                        ; implicit-def: $vgpr8
	v_add_co_u32 v14, s0, v0, v14
	v_add_co_ci_u32_e64 v15, s0, v9, v15, s0
	v_add_co_u32 v40, s0, v0, v34
	v_add_co_ci_u32_e64 v41, s0, v9, v35, s0
	s_clause 0x6
	global_load_dwordx2 v[48:49], v[6:7], off
	global_load_dwordx2 v[52:53], v[22:23], off
	global_load_dwordx2 v[6:7], v[24:25], off
	global_load_dwordx2 v[34:35], v[10:11], off
	global_load_dwordx2 v[36:37], v[20:21], off
	global_load_dwordx2 v[38:39], v[14:15], off
	global_load_dwordx2 v[40:41], v[40:41], off
	v_cmpx_gt_u32_e32 15, v62
	s_cbranch_execz .LBB0_13
; %bb.12:
	v_add_nc_u32_e32 v24, 0xe1, v62
	v_add_nc_u32_e32 v46, 0x1d1, v62
	;; [unrolled: 1-line block ×5, first 2 shown]
	v_mad_u64_u32 v[10:11], null, s20, v24, 0
	v_mad_u64_u32 v[14:15], null, s20, v46, 0
	;; [unrolled: 1-line block ×4, first 2 shown]
	v_mov_b32_e32 v8, v11
	v_mad_u64_u32 v[44:45], null, s20, v55, 0
	v_mov_b32_e32 v11, v15
	v_mad_u64_u32 v[24:25], null, s21, v24, v[8:9]
	v_mov_b32_e32 v8, v21
	s_waitcnt vmcnt(11)
	v_mad_u64_u32 v[46:47], null, s21, v46, v[11:12]
	v_mad_u64_u32 v[50:51], null, s21, v50, v[8:9]
	v_mov_b32_e32 v8, v23
	v_mov_b32_e32 v11, v24
	;; [unrolled: 1-line block ×4, first 2 shown]
	v_mad_u64_u32 v[24:25], null, s21, v54, v[8:9]
	v_lshlrev_b64 v[10:11], 3, v[10:11]
	v_mov_b32_e32 v21, v50
	v_lshlrev_b64 v[14:15], 3, v[14:15]
	v_mad_u64_u32 v[45:46], null, s21, v55, v[23:24]
	v_mov_b32_e32 v23, v24
	v_add_co_u32 v10, s0, v0, v10
	v_lshlrev_b64 v[20:21], 3, v[20:21]
	v_add_co_ci_u32_e64 v11, s0, v9, v11, s0
	v_add_co_u32 v14, s0, v0, v14
	v_lshlrev_b64 v[22:23], 3, v[22:23]
	v_add_co_ci_u32_e64 v15, s0, v9, v15, s0
	;; [unrolled: 3-line block ×3, first 2 shown]
	v_add_co_u32 v22, s0, v0, v22
	v_add_co_ci_u32_e64 v23, s0, v9, v23, s0
	v_add_co_u32 v24, s0, v0, v24
	v_add_co_ci_u32_e64 v25, s0, v9, v25, s0
	s_clause 0x4
	global_load_dwordx2 v[8:9], v[10:11], off
	global_load_dwordx2 v[54:55], v[14:15], off
	;; [unrolled: 1-line block ×5, first 2 shown]
.LBB0_13:
	s_or_b32 exec_lo, exec_lo, s6
.LBB0_14:
	s_or_b32 exec_lo, exec_lo, s1
	v_mul_hi_u32 v10, 0xaaaaaaab, v1
	s_waitcnt vmcnt(11)
	v_add_f32_e32 v0, v28, v12
	s_waitcnt vmcnt(10)
	v_add_f32_e32 v21, v26, v42
	v_add_f32_e32 v11, v2, v26
	v_sub_f32_e32 v14, v27, v43
	v_sub_f32_e32 v15, v26, v28
	v_fma_f32 v20, -0.5, v0, v2
	v_sub_f32_e32 v0, v42, v12
	v_sub_f32_e32 v22, v29, v13
	v_lshrrev_b32_e32 v10, 1, v10
	v_fmac_f32_e32 v2, -0.5, v21
	v_fmamk_f32 v23, v14, 0xbf737871, v20
	v_add_f32_e32 v0, v15, v0
	v_fmac_f32_e32 v20, 0x3f737871, v14
	v_lshl_add_u32 v10, v10, 1, v10
	s_waitcnt vmcnt(6)
	v_add_f32_e32 v15, v32, v48
	v_fmamk_f32 v21, v22, 0x3f737871, v2
	v_fmac_f32_e32 v2, 0xbf737871, v22
	v_fmac_f32_e32 v23, 0xbf167918, v22
	;; [unrolled: 1-line block ×3, first 2 shown]
	v_sub_nc_u32_e32 v1, v1, v10
	v_sub_f32_e32 v10, v28, v26
	v_sub_f32_e32 v24, v12, v42
	v_fma_f32 v15, -0.5, v15, v4
	s_waitcnt vmcnt(5)
	v_sub_f32_e32 v25, v31, v53
	v_fmac_f32_e32 v21, 0xbf167918, v14
	v_fmac_f32_e32 v2, 0x3f167918, v14
	v_add_f32_e32 v14, v30, v52
	v_fmac_f32_e32 v23, 0x3e9e377a, v0
	v_fmac_f32_e32 v20, 0x3e9e377a, v0
	v_add_f32_e32 v0, v10, v24
	v_fmamk_f32 v22, v25, 0xbf737871, v15
	v_sub_f32_e32 v10, v33, v49
	v_sub_f32_e32 v24, v30, v32
	;; [unrolled: 1-line block ×3, first 2 shown]
	v_add_f32_e32 v45, v4, v30
	v_fmac_f32_e32 v15, 0x3f737871, v25
	v_fmac_f32_e32 v4, -0.5, v14
	v_fmac_f32_e32 v22, 0xbf167918, v10
	v_add_f32_e32 v24, v24, v44
	v_fmac_f32_e32 v21, 0x3e9e377a, v0
	v_fmac_f32_e32 v15, 0x3f167918, v10
	v_fmamk_f32 v44, v10, 0x3f737871, v4
	v_fmac_f32_e32 v4, 0xbf737871, v10
	s_waitcnt vmcnt(1)
	v_add_f32_e32 v10, v36, v38
	v_fmac_f32_e32 v2, 0x3e9e377a, v0
	v_fmac_f32_e32 v22, 0x3e9e377a, v24
	v_sub_f32_e32 v0, v32, v30
	v_sub_f32_e32 v14, v48, v52
	v_fmac_f32_e32 v15, 0x3e9e377a, v24
	v_fmac_f32_e32 v44, 0xbf167918, v25
	;; [unrolled: 1-line block ×3, first 2 shown]
	v_fma_f32 v24, -0.5, v10, v6
	s_waitcnt vmcnt(0)
	v_sub_f32_e32 v25, v35, v41
	v_add_f32_e32 v46, v34, v40
	v_add_f32_e32 v0, v0, v14
	v_sub_f32_e32 v10, v34, v36
	v_sub_f32_e32 v14, v40, v38
	v_add_f32_e32 v61, v6, v34
	v_fmamk_f32 v66, v25, 0xbf737871, v24
	v_sub_f32_e32 v65, v37, v39
	v_fmac_f32_e32 v24, 0x3f737871, v25
	v_fmac_f32_e32 v6, -0.5, v46
	v_sub_f32_e32 v47, v36, v34
	v_sub_f32_e32 v60, v38, v40
	v_add_f32_e32 v10, v10, v14
	v_fmac_f32_e32 v66, 0xbf167918, v65
	v_fmac_f32_e32 v24, 0x3f167918, v65
	v_fmamk_f32 v46, v65, 0x3f737871, v6
	v_fmac_f32_e32 v6, 0xbf737871, v65
	v_mul_u32_u24_e32 v1, 0x4b0, v1
	v_add_f32_e32 v11, v11, v28
	v_add_f32_e32 v14, v47, v60
	v_fmac_f32_e32 v44, 0x3e9e377a, v0
	v_fmac_f32_e32 v46, 0xbf167918, v25
	;; [unrolled: 1-line block ×6, first 2 shown]
	v_sub_f32_e32 v0, v54, v56
	v_sub_f32_e32 v10, v50, v58
	v_add_f32_e32 v11, v11, v12
	v_add_f32_e32 v47, v54, v8
	v_mul_u32_u24_e32 v60, 20, v62
	v_lshlrev_b32_e32 v70, 2, v1
	v_fmac_f32_e32 v46, 0x3e9e377a, v14
	v_fmac_f32_e32 v6, 0x3e9e377a, v14
	v_add_f32_e32 v14, v58, v56
	v_add_f32_e32 v65, v10, v0
	;; [unrolled: 1-line block ×5, first 2 shown]
	v_add3_u32 v0, 0, v60, v70
	v_add_f32_e32 v25, v50, v54
	v_fma_f32 v74, -0.5, v14, v8
	v_add_f32_e32 v10, v10, v48
	v_add_f32_e32 v11, v58, v11
	ds_write2_b32 v0, v1, v23 offset1:1
	v_mul_i32_i24_e32 v1, 20, v63
	v_sub_f32_e32 v23, v55, v51
	v_fmac_f32_e32 v8, -0.5, v25
	v_add_f32_e32 v14, v10, v52
	ds_write2_b32 v0, v21, v2 offset0:2 offset1:3
	v_add_f32_e32 v10, v50, v11
	v_add3_u32 v1, 0, v1, v70
	v_fmamk_f32 v11, v23, 0xbf737871, v74
	v_sub_f32_e32 v2, v57, v59
	v_fmac_f32_e32 v74, 0x3f737871, v23
	ds_write_b32 v0, v20 offset:16
	ds_write2_b32 v1, v14, v22 offset1:1
	v_sub_f32_e32 v21, v56, v54
	v_sub_f32_e32 v22, v58, v50
	v_fmac_f32_e32 v11, 0xbf167918, v2
	v_fmamk_f32 v14, v2, 0x3f737871, v8
	v_fmac_f32_e32 v74, 0x3f167918, v2
	v_fmac_f32_e32 v8, 0xbf737871, v2
	v_add_f32_e32 v20, v61, v36
	v_add_f32_e32 v2, v22, v21
	v_fmac_f32_e32 v14, 0xbf167918, v23
	v_fmac_f32_e32 v11, 0x3e9e377a, v65
	;; [unrolled: 1-line block ×3, first 2 shown]
	v_mul_i32_i24_e32 v21, 20, v64
	v_fmac_f32_e32 v74, 0x3e9e377a, v65
	v_add_nc_u32_e32 v65, 0xe1, v62
	v_add_f32_e32 v20, v20, v38
	v_fmac_f32_e32 v14, 0x3e9e377a, v2
	v_fmac_f32_e32 v8, 0x3e9e377a, v2
	v_add3_u32 v75, 0, v21, v70
	v_cmp_gt_u32_e64 s0, 15, v62
	v_mul_u32_u24_e32 v2, 20, v65
	v_add_f32_e32 v20, v20, v40
	ds_write2_b32 v1, v44, v4 offset0:2 offset1:3
	ds_write_b32 v1, v15 offset:16
	ds_write2_b32 v75, v20, v66 offset1:1
	ds_write2_b32 v75, v46, v6 offset0:2 offset1:3
	ds_write_b32 v75, v24 offset:16
	s_and_saveexec_b32 s1, s0
	s_cbranch_execz .LBB0_16
; %bb.15:
	v_add3_u32 v4, 0, v2, v70
	ds_write2_b32 v4, v10, v11 offset1:1
	ds_write2_b32 v4, v14, v8 offset0:2 offset1:3
	ds_write_b32 v4, v74 offset:16
.LBB0_16:
	s_or_b32 exec_lo, exec_lo, s1
	v_lshlrev_b32_e32 v4, 2, v62
	v_add_nc_u32_e32 v6, 0, v70
	s_waitcnt lgkmcnt(0)
	s_barrier
	buffer_gl0_inv
	v_add3_u32 v66, 0, v4, v70
	v_add_nc_u32_e32 v67, v6, v4
	v_lshl_add_u32 v68, v63, 2, v6
	v_lshl_add_u32 v69, v64, 2, v6
	v_add_nc_u32_e32 v4, 0x200, v66
	v_add_nc_u32_e32 v22, 0x800, v66
	;; [unrolled: 1-line block ×6, first 2 shown]
	ds_read2_b32 v[60:61], v4 offset0:112 offset1:187
	ds_read2_b32 v[44:45], v15 offset0:134 offset1:224
	;; [unrolled: 1-line block ×6, first 2 shown]
	ds_read_b32 v73, v67
	ds_read_b32 v72, v68
	;; [unrolled: 1-line block ×3, first 2 shown]
	s_and_saveexec_b32 s1, s0
	s_cbranch_execz .LBB0_18
; %bb.17:
	v_add_nc_u32_e32 v4, 0xb00, v66
	v_add_nc_u32_e32 v6, 0x380, v66
	ds_read2_b32 v[14:15], v4 offset0:1 offset1:241
	ds_read2_b32 v[10:11], v6 offset0:1 offset1:241
	ds_read_b32 v74, v66 offset:4740
	s_waitcnt lgkmcnt(2)
	v_mov_b32_e32 v8, v15
.LBB0_18:
	s_or_b32 exec_lo, exec_lo, s1
	v_add_f32_e32 v4, v29, v13
	v_add_f32_e32 v6, v3, v27
	v_sub_f32_e32 v15, v26, v42
	v_add_f32_e32 v42, v27, v43
	v_sub_f32_e32 v12, v28, v12
	v_fma_f32 v4, -0.5, v4, v3
	v_add_f32_e32 v6, v6, v29
	v_sub_f32_e32 v26, v27, v29
	v_sub_f32_e32 v28, v43, v13
	;; [unrolled: 1-line block ×3, first 2 shown]
	v_fmamk_f32 v29, v15, 0x3f737871, v4
	v_fmac_f32_e32 v3, -0.5, v42
	v_add_f32_e32 v6, v6, v13
	v_fmac_f32_e32 v4, 0xbf737871, v15
	v_add_f32_e32 v26, v26, v28
	v_fmac_f32_e32 v29, 0x3f167918, v12
	v_sub_f32_e32 v13, v13, v43
	v_fmamk_f32 v28, v12, 0xbf737871, v3
	v_add_f32_e32 v6, v6, v43
	v_fmac_f32_e32 v4, 0xbf167918, v12
	v_add_f32_e32 v42, v5, v31
	v_add_f32_e32 v43, v33, v49
	v_fmac_f32_e32 v3, 0x3f737871, v12
	v_fmac_f32_e32 v29, 0x3e9e377a, v26
	;; [unrolled: 1-line block ×3, first 2 shown]
	v_add_f32_e32 v13, v27, v13
	v_add_f32_e32 v12, v42, v33
	v_fma_f32 v27, -0.5, v43, v5
	v_sub_f32_e32 v30, v30, v52
	v_fmac_f32_e32 v4, 0x3e9e377a, v26
	v_fmac_f32_e32 v3, 0xbf167918, v15
	v_add_f32_e32 v26, v31, v53
	v_fmac_f32_e32 v28, 0x3e9e377a, v13
	v_add_f32_e32 v12, v12, v49
	v_fmamk_f32 v15, v30, 0x3f737871, v27
	v_sub_f32_e32 v32, v32, v48
	v_sub_f32_e32 v42, v31, v33
	;; [unrolled: 1-line block ×3, first 2 shown]
	v_fmac_f32_e32 v3, 0x3e9e377a, v13
	v_fmac_f32_e32 v5, -0.5, v26
	v_fmac_f32_e32 v27, 0xbf737871, v30
	v_sub_f32_e32 v13, v33, v31
	v_sub_f32_e32 v26, v49, v53
	v_add_f32_e32 v31, v37, v39
	v_add_f32_e32 v48, v12, v53
	v_fmac_f32_e32 v15, 0x3f167918, v32
	v_add_f32_e32 v12, v42, v43
	v_fmamk_f32 v42, v32, 0xbf737871, v5
	v_fmac_f32_e32 v27, 0xbf167918, v32
	v_add_f32_e32 v13, v13, v26
	v_fmac_f32_e32 v5, 0x3f737871, v32
	v_add_f32_e32 v26, v7, v35
	v_fma_f32 v31, -0.5, v31, v7
	v_sub_f32_e32 v32, v34, v40
	v_fmac_f32_e32 v15, 0x3e9e377a, v12
	v_fmac_f32_e32 v42, 0x3f167918, v30
	;; [unrolled: 1-line block ×4, first 2 shown]
	v_add_f32_e32 v12, v26, v37
	v_fmamk_f32 v30, v32, 0x3f737871, v31
	v_sub_f32_e32 v26, v36, v38
	v_sub_f32_e32 v33, v35, v37
	;; [unrolled: 1-line block ×3, first 2 shown]
	v_fmac_f32_e32 v31, 0xbf737871, v32
	v_add_f32_e32 v36, v35, v41
	v_fmac_f32_e32 v30, 0x3f167918, v26
	v_add_f32_e32 v12, v12, v39
	v_add_f32_e32 v33, v33, v34
	v_fmac_f32_e32 v31, 0xbf167918, v26
	v_fmac_f32_e32 v7, -0.5, v36
	v_fmac_f32_e32 v42, 0x3e9e377a, v13
	v_fmac_f32_e32 v5, 0x3e9e377a, v13
	;; [unrolled: 1-line block ×4, first 2 shown]
	v_fmamk_f32 v33, v26, 0xbf737871, v7
	v_fmac_f32_e32 v7, 0x3f737871, v26
	v_add_f32_e32 v34, v12, v41
	v_add_f32_e32 v12, v59, v57
	v_sub_f32_e32 v13, v37, v35
	v_sub_f32_e32 v35, v39, v41
	v_add_f32_e32 v26, v55, v9
	v_fmac_f32_e32 v33, 0x3f167918, v32
	v_fmac_f32_e32 v7, 0xbf167918, v32
	v_add_f32_e32 v32, v51, v55
	v_fma_f32 v43, -0.5, v12, v9
	v_sub_f32_e32 v12, v54, v50
	v_add_f32_e32 v35, v13, v35
	v_add_f32_e32 v26, v57, v26
	v_sub_f32_e32 v36, v56, v58
	v_fmac_f32_e32 v9, -0.5, v32
	v_fmamk_f32 v13, v12, 0x3f737871, v43
	v_fmac_f32_e32 v33, 0x3e9e377a, v35
	v_fmac_f32_e32 v7, 0x3e9e377a, v35
	v_add_f32_e32 v35, v59, v26
	v_sub_f32_e32 v32, v55, v57
	v_sub_f32_e32 v37, v51, v59
	v_fmac_f32_e32 v43, 0xbf737871, v12
	v_fmamk_f32 v26, v36, 0xbf737871, v9
	v_sub_f32_e32 v38, v57, v55
	v_sub_f32_e32 v39, v59, v51
	v_fmac_f32_e32 v9, 0x3f737871, v36
	v_fmac_f32_e32 v13, 0x3f167918, v36
	v_add_f32_e32 v32, v37, v32
	v_fmac_f32_e32 v43, 0xbf167918, v36
	v_fmac_f32_e32 v26, 0x3f167918, v12
	v_add_f32_e32 v36, v39, v38
	v_fmac_f32_e32 v9, 0xbf167918, v12
	v_add_f32_e32 v12, v51, v35
	v_fmac_f32_e32 v13, 0x3e9e377a, v32
	v_fmac_f32_e32 v43, 0x3e9e377a, v32
	;; [unrolled: 1-line block ×4, first 2 shown]
	s_waitcnt lgkmcnt(0)
	s_barrier
	buffer_gl0_inv
	ds_write2_b32 v0, v6, v29 offset1:1
	ds_write2_b32 v0, v28, v3 offset0:2 offset1:3
	ds_write_b32 v0, v4 offset:16
	ds_write2_b32 v1, v48, v15 offset1:1
	ds_write2_b32 v1, v42, v5 offset0:2 offset1:3
	ds_write_b32 v1, v27 offset:16
	;; [unrolled: 3-line block ×3, first 2 shown]
	s_and_saveexec_b32 s1, s0
	s_cbranch_execz .LBB0_20
; %bb.19:
	v_add3_u32 v0, 0, v2, v70
	ds_write2_b32 v0, v12, v13 offset1:1
	ds_write2_b32 v0, v26, v9 offset0:2 offset1:3
	ds_write_b32 v0, v43 offset:16
.LBB0_20:
	s_or_b32 exec_lo, exec_lo, s1
	v_add_nc_u32_e32 v0, 0x200, v66
	v_add_nc_u32_e32 v1, 0x400, v66
	s_waitcnt lgkmcnt(0)
	s_barrier
	buffer_gl0_inv
	ds_read2_b32 v[38:39], v0 offset0:112 offset1:187
	v_add_nc_u32_e32 v0, 0xa00, v66
	v_add_nc_u32_e32 v2, 0xc00, v66
	;; [unrolled: 1-line block ×4, first 2 shown]
	ds_read2_b32 v[36:37], v1 offset0:134 offset1:224
	ds_read2_b32 v[32:33], v0 offset0:80 offset1:155
	;; [unrolled: 1-line block ×5, first 2 shown]
	ds_read_b32 v42, v67
	ds_read_b32 v41, v68
	;; [unrolled: 1-line block ×3, first 2 shown]
	s_and_saveexec_b32 s1, s0
	s_cbranch_execz .LBB0_22
; %bb.21:
	v_add_nc_u32_e32 v0, 0xb00, v66
	v_add_nc_u32_e32 v1, 0x380, v66
	ds_read2_b32 v[26:27], v0 offset0:1 offset1:241
	ds_read2_b32 v[12:13], v1 offset0:1 offset1:241
	ds_read_b32 v43, v66 offset:4740
	s_waitcnt lgkmcnt(2)
	v_mov_b32_e32 v9, v27
.LBB0_22:
	s_or_b32 exec_lo, exec_lo, s1
	v_and_b32_e32 v15, 0xff, v62
	v_and_b32_e32 v1, 0xff, v63
	v_mov_b32_e32 v83, 5
	v_mul_lo_u16 v0, 0xcd, v15
	v_lshrrev_b16 v59, 10, v0
	v_mul_lo_u16 v0, 0xcd, v1
	v_mul_lo_u16 v1, v59, 5
	v_lshrrev_b16 v87, 10, v0
	v_and_b32_e32 v0, 0xff, v64
	v_sub_nc_u16 v48, v62, v1
	v_mul_lo_u16 v1, v87, 5
	v_mul_lo_u16 v5, 0xcd, v0
	v_lshlrev_b32_sdwa v4, v83, v48 dst_sel:DWORD dst_unused:UNUSED_PAD src0_sel:DWORD src1_sel:BYTE_0
	v_sub_nc_u16 v49, v63, v1
	v_lshrrev_b16 v88, 10, v5
	global_load_dwordx4 v[0:3], v4, s[8:9]
	v_lshlrev_b32_sdwa v27, v83, v49 dst_sel:DWORD dst_unused:UNUSED_PAD src0_sel:DWORD src1_sel:BYTE_0
	v_mul_lo_u16 v5, v88, 5
	global_load_dwordx4 v[55:58], v27, s[8:9]
	v_sub_nc_u16 v54, v64, v5
	v_mov_b32_e32 v5, 0xcccd
	v_lshlrev_b32_sdwa v79, v83, v54 dst_sel:DWORD dst_unused:UNUSED_PAD src0_sel:DWORD src1_sel:BYTE_0
	v_mul_u32_u24_sdwa v50, v65, v5 dst_sel:DWORD dst_unused:UNUSED_PAD src0_sel:WORD_0 src1_sel:DWORD
	s_clause 0x1
	global_load_dwordx4 v[4:7], v4, s[8:9] offset:16
	global_load_dwordx4 v[75:78], v79, s[8:9]
	v_lshrrev_b32_e32 v80, 18, v50
	s_waitcnt vmcnt(3) lgkmcnt(8)
	v_mul_f32_e32 v52, v38, v1
	v_mul_f32_e32 v1, v60, v1
	s_waitcnt lgkmcnt(7)
	v_mul_f32_e32 v53, v37, v3
	v_mul_f32_e32 v3, v45, v3
	v_fmac_f32_e32 v52, v60, v0
	v_fma_f32 v50, v38, v0, -v1
	v_fmac_f32_e32 v53, v45, v2
	v_fma_f32 v51, v37, v2, -v3
	global_load_dwordx4 v[0:3], v27, s[8:9] offset:16
	v_mul_lo_u16 v27, v80, 5
	s_waitcnt vmcnt(3) lgkmcnt(4)
	v_mul_f32_e32 v38, v34, v58
	v_mul_f32_e32 v45, v39, v56
	;; [unrolled: 1-line block ×4, first 2 shown]
	v_sub_nc_u16 v27, v65, v27
	v_fmac_f32_e32 v38, v46, v57
	s_waitcnt vmcnt(1)
	v_mul_f32_e32 v46, v36, v76
	v_fmac_f32_e32 v45, v61, v55
	v_fma_f32 v37, v39, v55, -v37
	v_fma_f32 v34, v34, v57, -v56
	global_load_dwordx4 v[79:82], v79, s[8:9] offset:16
	v_mul_f32_e32 v55, v44, v76
	v_mul_f32_e32 v39, v35, v78
	v_lshlrev_b32_sdwa v56, v83, v27 dst_sel:DWORD dst_unused:UNUSED_PAD src0_sel:DWORD src1_sel:WORD_0
	v_fmac_f32_e32 v46, v44, v75
	v_mul_f32_e32 v44, v47, v78
	v_fma_f32 v36, v36, v75, -v55
	v_fmac_f32_e32 v39, v47, v77
	global_load_dwordx4 v[83:86], v56, s[8:9]
	v_and_b32_e32 v47, 0xffff, v59
	v_fma_f32 v35, v35, v77, -v44
	global_load_dwordx4 v[75:78], v56, s[8:9] offset:16
	v_and_b32_e32 v55, 0xffff, v87
	v_and_b32_e32 v57, 0xffff, v88
	v_mov_b32_e32 v56, 2
	v_mad_u32_u24 v47, 0x64, v47, 0
	v_mul_f32_e32 v60, v32, v5
	v_mad_u32_u24 v58, 0x64, v55, 0
	v_mad_u32_u24 v57, 0x64, v57, 0
	v_lshlrev_b32_sdwa v48, v56, v48 dst_sel:DWORD dst_unused:UNUSED_PAD src0_sel:DWORD src1_sel:BYTE_0
	v_lshlrev_b32_sdwa v49, v56, v49 dst_sel:DWORD dst_unused:UNUSED_PAD src0_sel:DWORD src1_sel:BYTE_0
	;; [unrolled: 1-line block ×3, first 2 shown]
	v_mul_f32_e32 v5, v24, v5
	v_mul_f32_e32 v61, v31, v7
	v_add3_u32 v55, v47, v48, v70
	v_add3_u32 v54, v58, v49, v70
	;; [unrolled: 1-line block ×3, first 2 shown]
	v_mul_f32_e32 v7, v21, v7
	v_fmac_f32_e32 v60, v24, v4
	v_fma_f32 v58, v32, v4, -v5
	v_fmac_f32_e32 v61, v21, v6
	v_sub_f32_e32 v48, v45, v38
	v_fma_f32 v59, v31, v6, -v7
	v_and_b32_e32 v44, 0xff, v65
	s_waitcnt vmcnt(0) lgkmcnt(0)
	s_barrier
	buffer_gl0_inv
	v_mul_f32_e32 v57, v33, v1
	v_mul_f32_e32 v1, v25, v1
	;; [unrolled: 1-line block ×4, first 2 shown]
	v_fmac_f32_e32 v57, v25, v0
	v_fma_f32 v31, v33, v0, -v1
	v_fmac_f32_e32 v32, v22, v2
	v_fma_f32 v22, v28, v2, -v3
	v_add_f32_e32 v33, v38, v57
	v_mul_f32_e32 v24, v30, v80
	v_mul_f32_e32 v7, v20, v80
	;; [unrolled: 1-line block ×4, first 2 shown]
	v_sub_f32_e32 v49, v32, v57
	v_fmac_f32_e32 v24, v20, v79
	v_fma_f32 v7, v30, v79, -v7
	v_fmac_f32_e32 v25, v23, v81
	v_mul_f32_e32 v6, v13, v84
	v_mul_f32_e32 v1, v11, v84
	;; [unrolled: 1-line block ×8, first 2 shown]
	v_fma_f32 v21, v29, v81, -v0
	v_fmac_f32_e32 v6, v11, v83
	v_fma_f32 v3, v13, v83, -v1
	v_fmac_f32_e32 v4, v14, v85
	;; [unrolled: 2-line block ×4, first 2 shown]
	v_add_f32_e32 v8, v53, v60
	v_sub_f32_e32 v9, v52, v53
	v_sub_f32_e32 v11, v61, v60
	v_add_f32_e32 v26, v52, v61
	v_sub_f32_e32 v28, v53, v52
	v_sub_f32_e32 v29, v60, v61
	v_add_f32_e32 v74, v45, v32
	v_fma_f32 v0, v43, v77, -v30
	v_add_f32_e32 v13, v73, v52
	v_sub_f32_e32 v14, v50, v59
	v_sub_f32_e32 v23, v51, v58
	v_add_f32_e32 v30, v72, v45
	v_sub_f32_e32 v43, v37, v22
	v_sub_f32_e32 v75, v38, v45
	;; [unrolled: 1-line block ×3, first 2 shown]
	v_add_f32_e32 v78, v39, v24
	v_sub_f32_e32 v79, v46, v39
	v_sub_f32_e32 v80, v25, v24
	v_add_f32_e32 v81, v46, v25
	v_sub_f32_e32 v82, v39, v46
	v_sub_f32_e32 v83, v24, v25
	;; [unrolled: 1-line block ×3, first 2 shown]
	v_add_f32_e32 v85, v9, v11
	v_sub_f32_e32 v9, v20, v5
	v_fma_f32 v86, -0.5, v8, v73
	v_fmac_f32_e32 v73, -0.5, v26
	v_sub_f32_e32 v26, v4, v6
	v_add_f32_e32 v28, v28, v29
	v_sub_f32_e32 v29, v5, v20
	v_add_f32_e32 v87, v48, v49
	v_sub_f32_e32 v48, v34, v31
	v_fma_f32 v33, -0.5, v33, v72
	v_fmac_f32_e32 v72, -0.5, v74
	v_add_f32_e32 v77, v71, v46
	v_sub_f32_e32 v49, v36, v21
	v_add_f32_e32 v74, v75, v76
	v_sub_f32_e32 v75, v35, v7
	v_add_f32_e32 v76, v79, v80
	v_add_f32_e32 v79, v4, v5
	v_fma_f32 v78, -0.5, v78, v71
	v_fmac_f32_e32 v71, -0.5, v81
	v_add_f32_e32 v80, v82, v83
	v_add_f32_e32 v81, v6, v20
	;; [unrolled: 1-line block ×3, first 2 shown]
	v_fmamk_f32 v82, v14, 0xbf737871, v86
	v_fmac_f32_e32 v86, 0x3f737871, v14
	v_add_f32_e32 v9, v26, v29
	v_fmamk_f32 v26, v23, 0x3f737871, v73
	v_fmac_f32_e32 v73, 0xbf737871, v23
	v_fmamk_f32 v29, v43, 0xbf737871, v33
	v_fmac_f32_e32 v33, 0x3f737871, v43
	;; [unrolled: 2-line block ×3, first 2 shown]
	v_sub_f32_e32 v8, v3, v0
	v_fmac_f32_e32 v82, 0xbf167918, v23
	v_fmac_f32_e32 v86, 0x3f167918, v23
	;; [unrolled: 1-line block ×6, first 2 shown]
	v_fmamk_f32 v84, v49, 0xbf737871, v78
	v_fmac_f32_e32 v78, 0x3f737871, v49
	v_fmac_f32_e32 v83, 0xbf167918, v43
	;; [unrolled: 1-line block ×3, first 2 shown]
	v_fmamk_f32 v43, v75, 0x3f737871, v71
	v_fmac_f32_e32 v71, 0xbf737871, v75
	v_sub_f32_e32 v23, v2, v1
	v_add_f32_e32 v48, v13, v53
	v_fma_f32 v13, -0.5, v79, v10
	v_fma_f32 v14, -0.5, v81, v10
	v_fmac_f32_e32 v84, 0xbf167918, v75
	v_fmac_f32_e32 v78, 0x3f167918, v75
	v_add_f32_e32 v75, v77, v39
	v_add_f32_e32 v77, v48, v60
	v_fmac_f32_e32 v43, 0xbf167918, v49
	v_fmac_f32_e32 v71, 0x3f167918, v49
	v_fmamk_f32 v48, v8, 0xbf737871, v13
	v_fmamk_f32 v49, v23, 0x3f737871, v14
	v_add_f32_e32 v30, v30, v38
	v_fmac_f32_e32 v82, 0x3e9e377a, v85
	v_add_f32_e32 v75, v75, v24
	v_fmac_f32_e32 v48, 0xbf167918, v23
	v_fmac_f32_e32 v49, 0xbf167918, v8
	v_add_f32_e32 v30, v30, v57
	v_add_f32_e32 v77, v77, v61
	v_fmac_f32_e32 v26, 0x3e9e377a, v28
	v_fmac_f32_e32 v48, 0x3e9e377a, v11
	;; [unrolled: 1-line block ×5, first 2 shown]
	v_add_f32_e32 v30, v30, v32
	v_fmac_f32_e32 v29, 0x3e9e377a, v87
	v_fmac_f32_e32 v83, 0x3e9e377a, v74
	;; [unrolled: 1-line block ×3, first 2 shown]
	v_add_f32_e32 v75, v75, v25
	v_fmac_f32_e32 v33, 0x3e9e377a, v87
	v_fmac_f32_e32 v84, 0x3e9e377a, v76
	;; [unrolled: 1-line block ×5, first 2 shown]
	ds_write2_b32 v55, v77, v82 offset1:5
	ds_write2_b32 v55, v26, v73 offset0:10 offset1:15
	ds_write_b32 v55, v86 offset:80
	ds_write2_b32 v54, v30, v29 offset1:5
	ds_write2_b32 v54, v83, v72 offset0:10 offset1:15
	ds_write_b32 v54, v33 offset:80
	;; [unrolled: 3-line block ×3, first 2 shown]
	s_and_saveexec_b32 s1, s0
	s_cbranch_execz .LBB0_24
; %bb.23:
	v_mul_lo_u16 v26, 0xcd, v44
	v_add_f32_e32 v10, v10, v6
	v_mul_f32_e32 v29, 0x3f167918, v23
	v_mul_f32_e32 v23, 0x3f737871, v23
	;; [unrolled: 1-line block ×3, first 2 shown]
	v_lshrrev_b16 v26, 10, v26
	v_add_f32_e32 v10, v10, v4
	v_mul_f32_e32 v8, 0x3f167918, v8
	v_sub_f32_e32 v14, v14, v23
	v_add_f32_e32 v13, v13, v28
	v_and_b32_e32 v26, 0xffff, v26
	v_lshlrev_b32_sdwa v23, v56, v27 dst_sel:DWORD dst_unused:UNUSED_PAD src0_sel:DWORD src1_sel:WORD_0
	v_add_f32_e32 v10, v10, v5
	v_mul_f32_e32 v9, 0x3e9e377a, v9
	v_add_f32_e32 v8, v8, v14
	v_mad_u32_u24 v26, 0x64, v26, 0
	v_mul_f32_e32 v11, 0x3e9e377a, v11
	v_add_f32_e32 v13, v29, v13
	v_add_f32_e32 v10, v10, v20
	;; [unrolled: 1-line block ×3, first 2 shown]
	v_add3_u32 v14, v26, v23, v70
	v_add_f32_e32 v9, v11, v13
	ds_write2_b32 v14, v10, v48 offset1:5
	ds_write2_b32 v14, v49, v8 offset0:10 offset1:15
	ds_write_b32 v14, v9 offset:80
.LBB0_24:
	s_or_b32 exec_lo, exec_lo, s1
	v_add_f32_e32 v9, v42, v50
	v_add_f32_e32 v8, v51, v58
	v_sub_f32_e32 v10, v52, v61
	v_sub_f32_e32 v11, v53, v60
	;; [unrolled: 1-line block ×3, first 2 shown]
	v_add_f32_e32 v9, v9, v51
	v_fma_f32 v43, -0.5, v8, v42
	v_sub_f32_e32 v8, v59, v58
	v_add_f32_e32 v14, v50, v59
	v_sub_f32_e32 v23, v51, v50
	v_add_f32_e32 v9, v9, v58
	v_fmamk_f32 v52, v10, 0x3f737871, v43
	v_fmac_f32_e32 v43, 0xbf737871, v10
	v_add_f32_e32 v8, v13, v8
	v_fmac_f32_e32 v42, -0.5, v14
	v_add_f32_e32 v56, v9, v59
	v_add_f32_e32 v9, v41, v37
	v_fmac_f32_e32 v52, 0x3f167918, v11
	v_fmac_f32_e32 v43, 0xbf167918, v11
	v_add_f32_e32 v14, v34, v31
	v_sub_f32_e32 v13, v58, v59
	v_add_f32_e32 v9, v9, v34
	v_fmamk_f32 v53, v11, 0xbf737871, v42
	v_fmac_f32_e32 v52, 0x3e9e377a, v8
	v_fmac_f32_e32 v42, 0x3f737871, v11
	v_fma_f32 v58, -0.5, v14, v41
	v_sub_f32_e32 v11, v45, v32
	v_fmac_f32_e32 v43, 0x3e9e377a, v8
	v_add_f32_e32 v8, v9, v31
	v_add_f32_e32 v9, v37, v22
	v_fmac_f32_e32 v53, 0x3f167918, v10
	v_add_f32_e32 v13, v23, v13
	v_fmac_f32_e32 v42, 0xbf167918, v10
	v_fmamk_f32 v45, v11, 0x3f737871, v58
	v_sub_f32_e32 v10, v38, v57
	v_sub_f32_e32 v14, v37, v34
	;; [unrolled: 1-line block ×3, first 2 shown]
	v_fmac_f32_e32 v41, -0.5, v9
	v_fmac_f32_e32 v58, 0xbf737871, v11
	v_add_f32_e32 v38, v8, v22
	v_fmac_f32_e32 v45, 0x3f167918, v10
	v_add_f32_e32 v8, v14, v23
	v_fmamk_f32 v57, v10, 0xbf737871, v41
	v_fmac_f32_e32 v58, 0xbf167918, v10
	v_fmac_f32_e32 v41, 0x3f737871, v10
	v_add_f32_e32 v10, v40, v36
	v_fmac_f32_e32 v53, 0x3e9e377a, v13
	v_fmac_f32_e32 v42, 0x3e9e377a, v13
	v_sub_f32_e32 v9, v34, v37
	v_sub_f32_e32 v13, v31, v22
	v_fmac_f32_e32 v45, 0x3e9e377a, v8
	v_add_f32_e32 v14, v35, v7
	v_fmac_f32_e32 v58, 0x3e9e377a, v8
	v_add_f32_e32 v8, v10, v35
	v_add_f32_e32 v10, v36, v21
	v_fmac_f32_e32 v57, 0x3f167918, v11
	v_add_f32_e32 v9, v9, v13
	v_fma_f32 v59, -0.5, v14, v40
	v_sub_f32_e32 v13, v46, v25
	v_fmac_f32_e32 v41, 0xbf167918, v11
	v_sub_f32_e32 v11, v39, v24
	v_sub_f32_e32 v14, v36, v35
	;; [unrolled: 1-line block ×3, first 2 shown]
	v_fmac_f32_e32 v40, -0.5, v10
	v_add_f32_e32 v8, v8, v7
	v_fmac_f32_e32 v57, 0x3e9e377a, v9
	v_fmamk_f32 v46, v13, 0x3f737871, v59
	v_fmac_f32_e32 v41, 0x3e9e377a, v9
	v_add_f32_e32 v39, v14, v22
	v_fmac_f32_e32 v59, 0xbf737871, v13
	v_fmamk_f32 v60, v11, 0xbf737871, v40
	v_add_f32_e32 v9, v2, v1
	v_add_f32_e32 v61, v8, v21
	v_sub_f32_e32 v33, v6, v20
	v_sub_f32_e32 v6, v35, v36
	;; [unrolled: 1-line block ×3, first 2 shown]
	v_fmac_f32_e32 v40, 0x3f737871, v11
	v_add_f32_e32 v8, v3, v0
	v_sub_f32_e32 v35, v4, v5
	v_sub_f32_e32 v4, v3, v2
	;; [unrolled: 1-line block ×3, first 2 shown]
	v_add_nc_u32_e32 v26, 0x200, v66
	v_add_nc_u32_e32 v22, 0x400, v66
	;; [unrolled: 1-line block ×5, first 2 shown]
	v_fmac_f32_e32 v46, 0x3f167918, v11
	v_fmac_f32_e32 v59, 0xbf167918, v11
	;; [unrolled: 1-line block ×3, first 2 shown]
	v_fma_f32 v32, -0.5, v9, v12
	v_fma_f32 v34, -0.5, v8, v12
	v_add_f32_e32 v71, v6, v7
	v_fmac_f32_e32 v40, 0xbf167918, v13
	v_add_f32_e32 v36, v4, v5
	s_waitcnt lgkmcnt(0)
	s_barrier
	buffer_gl0_inv
	ds_read_b32 v23, v67
	ds_read_b32 v25, v69
	ds_read2_b32 v[20:21], v26 offset0:97 offset1:172
	ds_read2_b32 v[13:14], v22 offset0:119 offset1:194
	;; [unrolled: 1-line block ×6, first 2 shown]
	ds_read_b32 v30, v68
	ds_read_b32 v29, v66 offset:4500
	v_fmamk_f32 v50, v33, 0x3f737871, v32
	v_fmamk_f32 v51, v35, 0xbf737871, v34
	v_sub_f32_e32 v37, v2, v3
	v_sub_f32_e32 v72, v1, v0
	v_fmac_f32_e32 v46, 0x3e9e377a, v39
	v_fmac_f32_e32 v50, 0x3f167918, v35
	;; [unrolled: 1-line block ×4, first 2 shown]
	v_add_f32_e32 v37, v37, v72
	v_fmac_f32_e32 v60, 0x3e9e377a, v71
	v_fmac_f32_e32 v50, 0x3e9e377a, v36
	;; [unrolled: 1-line block ×3, first 2 shown]
	s_waitcnt lgkmcnt(0)
	v_fmac_f32_e32 v51, 0x3e9e377a, v37
	s_barrier
	buffer_gl0_inv
	ds_write2_b32 v55, v56, v52 offset1:5
	ds_write2_b32 v55, v53, v42 offset0:10 offset1:15
	ds_write_b32 v55, v43 offset:80
	ds_write2_b32 v54, v38, v45 offset1:5
	ds_write2_b32 v54, v57, v41 offset0:10 offset1:15
	ds_write_b32 v54, v58 offset:80
	;; [unrolled: 3-line block ×3, first 2 shown]
	s_and_saveexec_b32 s1, s0
	s_cbranch_execz .LBB0_26
; %bb.25:
	v_mul_lo_u16 v38, 0xcd, v44
	v_add_f32_e32 v3, v12, v3
	v_mul_f32_e32 v40, 0x3f167918, v35
	v_mul_f32_e32 v35, 0x3f737871, v35
	;; [unrolled: 1-line block ×3, first 2 shown]
	v_lshrrev_b16 v12, 10, v38
	v_add_f32_e32 v2, v3, v2
	v_mul_f32_e32 v33, 0x3f167918, v33
	v_add_f32_e32 v34, v35, v34
	v_sub_f32_e32 v32, v32, v39
	v_and_b32_e32 v3, 0xffff, v12
	v_mov_b32_e32 v12, 2
	v_add_f32_e32 v1, v2, v1
	v_mul_f32_e32 v37, 0x3e9e377a, v37
	v_mul_f32_e32 v36, 0x3e9e377a, v36
	v_mad_u32_u24 v2, 0x64, v3, 0
	v_lshlrev_b32_sdwa v3, v12, v27 dst_sel:DWORD dst_unused:UNUSED_PAD src0_sel:DWORD src1_sel:WORD_0
	v_sub_f32_e32 v12, v34, v33
	v_sub_f32_e32 v27, v32, v40
	v_add_f32_e32 v0, v1, v0
	v_add3_u32 v1, v2, v3, v70
	v_add_f32_e32 v2, v37, v12
	v_add_f32_e32 v3, v36, v27
	ds_write2_b32 v1, v0, v50 offset1:5
	ds_write2_b32 v1, v51, v2 offset0:10 offset1:15
	ds_write_b32 v1, v3 offset:80
.LBB0_26:
	s_or_b32 exec_lo, exec_lo, s1
	v_mul_lo_u16 v0, v15, 41
	v_mov_b32_e32 v1, 15
	s_waitcnt lgkmcnt(0)
	s_barrier
	buffer_gl0_inv
	v_lshrrev_b16 v12, 10, v0
	v_cmp_gt_u32_e64 s0, 25, v62
	v_mul_lo_u16 v0, v12, 25
	v_and_b32_e32 v12, 0xffff, v12
	v_sub_nc_u16 v15, v62, v0
	v_mad_u32_u24 v12, 0x640, v12, 0
	v_mul_u32_u24_sdwa v0, v15, v1 dst_sel:DWORD dst_unused:UNUSED_PAD src0_sel:BYTE_0 src1_sel:DWORD
	v_lshlrev_b32_e32 v27, 3, v0
	s_clause 0x7
	global_load_dwordx4 v[37:40], v27, s[8:9] offset:176
	global_load_dwordx4 v[41:44], v27, s[8:9] offset:192
	;; [unrolled: 1-line block ×7, first 2 shown]
	global_load_dwordx2 v[45:46], v27, s[8:9] offset:272
	ds_read2_b32 v[60:61], v26 offset0:97 offset1:172
	ds_read2_b32 v[79:80], v22 offset0:119 offset1:194
	ds_read_b32 v35, v67
	ds_read2_b32 v[81:82], v28 offset0:163 offset1:238
	ds_read2_b32 v[83:84], v24 offset0:57 offset1:132
	;; [unrolled: 1-line block ×4, first 2 shown]
	ds_read_b32 v47, v69
	ds_read_b32 v85, v68
	ds_read_b32 v86, v66 offset:4500
	v_mov_b32_e32 v27, 2
	s_waitcnt vmcnt(0) lgkmcnt(0)
	s_barrier
	buffer_gl0_inv
	v_lshlrev_b32_sdwa v27, v27, v15 dst_sel:DWORD dst_unused:UNUSED_PAD src0_sel:DWORD src1_sel:BYTE_0
	v_add_nc_u32_e32 v15, 0xa00, v66
	v_add3_u32 v36, v12, v27, v70
	v_add_nc_u32_e32 v12, 0x1000, v66
	v_add_nc_u32_e32 v70, 0x400, v36
	;; [unrolled: 1-line block ×3, first 2 shown]
	v_mul_f32_e32 v87, v60, v38
	v_mul_f32_e32 v88, v61, v40
	;; [unrolled: 1-line block ×13, first 2 shown]
	v_fmac_f32_e32 v87, v20, v37
	v_fmac_f32_e32 v88, v21, v39
	v_mul_f32_e32 v20, v9, v59
	v_fma_f32 v37, v60, v37, -v38
	v_fma_f32 v21, v61, v39, -v40
	v_mul_f32_e32 v38, v47, v74
	v_mul_f32_e32 v39, v25, v74
	;; [unrolled: 1-line block ×6, first 2 shown]
	v_fmac_f32_e32 v89, v13, v41
	v_fmac_f32_e32 v90, v14, v43
	v_mul_f32_e32 v13, v6, v76
	v_mul_f32_e32 v14, v32, v78
	v_fma_f32 v41, v79, v41, -v42
	v_fma_f32 v42, v80, v43, -v44
	v_mul_f32_e32 v43, v7, v78
	v_mul_f32_e32 v44, v86, v46
	;; [unrolled: 1-line block ×7, first 2 shown]
	v_fmac_f32_e32 v91, v10, v52
	v_fmac_f32_e32 v92, v11, v54
	v_fma_f32 v11, v82, v54, -v55
	v_fmac_f32_e32 v93, v8, v56
	v_fma_f32 v20, v84, v58, -v20
	v_fmac_f32_e32 v95, v30, v71
	v_fmac_f32_e32 v38, v25, v73
	v_fma_f32 v25, v47, v73, -v39
	v_fmac_f32_e32 v40, v4, v0
	v_fma_f32 v0, v33, v0, -v1
	;; [unrolled: 5-line block ×3, first 2 shown]
	v_fma_f32 v6, v86, v45, -v46
	v_fma_f32 v10, v81, v52, -v53
	v_fmac_f32_e32 v94, v9, v58
	v_fma_f32 v9, v83, v56, -v57
	v_fma_f32 v30, v85, v71, -v59
	v_fmac_f32_e32 v44, v29, v45
	v_sub_f32_e32 v7, v23, v60
	v_sub_f32_e32 v13, v21, v20
	;; [unrolled: 1-line block ×15, first 2 shown]
	v_fma_f32 v43, v38, 2.0, -v20
	v_fma_f32 v38, v25, 2.0, -v11
	;; [unrolled: 1-line block ×5, first 2 shown]
	v_add_f32_e32 v47, v7, v13
	v_add_f32_e32 v56, v20, v4
	v_sub_f32_e32 v57, v11, v14
	v_add_f32_e32 v14, v29, v1
	v_add_f32_e32 v52, v32, v6
	v_fma_f32 v23, v23, 2.0, -v7
	v_fma_f32 v39, v88, 2.0, -v8
	v_fma_f32 v42, v42, 2.0, -v4
	v_fma_f32 v30, v30, 2.0, -v10
	v_fma_f32 v41, v41, 2.0, -v1
	v_fma_f32 v46, v87, 2.0, -v32
	v_fma_f32 v37, v37, 2.0, -v9
	v_fma_f32 v40, v40, 2.0, -v33
	v_fma_f32 v0, v0, 2.0, -v6
	v_sub_f32_e32 v31, v10, v31
	v_sub_f32_e32 v33, v9, v33
	v_fma_f32 v54, v7, 2.0, -v47
	v_sub_f32_e32 v1, v43, v25
	v_fma_f32 v55, v20, 2.0, -v56
	;; [unrolled: 2-line block ×3, first 2 shown]
	v_fma_f32 v32, v32, 2.0, -v52
	v_sub_f32_e32 v53, v23, v39
	v_sub_f32_e32 v39, v38, v42
	v_fma_f32 v58, v11, 2.0, -v57
	v_sub_f32_e32 v25, v30, v41
	v_fma_f32 v41, v10, 2.0, -v31
	v_sub_f32_e32 v10, v46, v40
	v_sub_f32_e32 v11, v37, v0
	v_fmamk_f32 v45, v56, 0x3f3504f3, v47
	v_fmamk_f32 v0, v52, 0x3f3504f3, v14
	v_fma_f32 v9, v9, 2.0, -v33
	v_fma_f32 v42, v43, 2.0, -v1
	;; [unrolled: 1-line block ×3, first 2 shown]
	v_fmamk_f32 v44, v55, 0xbf3504f3, v54
	v_fmamk_f32 v4, v32, 0xbf3504f3, v29
	;; [unrolled: 1-line block ×3, first 2 shown]
	v_fma_f32 v40, v30, 2.0, -v25
	v_fma_f32 v30, v46, 2.0, -v10
	v_add_f32_e32 v46, v53, v39
	v_fmac_f32_e32 v45, 0x3f3504f3, v57
	v_add_f32_e32 v59, v20, v11
	v_fmac_f32_e32 v0, 0x3f3504f3, v33
	v_fma_f32 v23, v23, 2.0, -v53
	v_fmamk_f32 v7, v9, 0xbf3504f3, v41
	v_sub_f32_e32 v60, v25, v10
	v_fmac_f32_e32 v44, 0x3f3504f3, v58
	v_fmac_f32_e32 v4, 0x3f3504f3, v9
	;; [unrolled: 1-line block ×3, first 2 shown]
	v_fma_f32 v52, v53, 2.0, -v46
	v_fma_f32 v47, v47, 2.0, -v45
	v_fma_f32 v61, v20, 2.0, -v59
	v_fma_f32 v10, v14, 2.0, -v0
	v_fma_f32 v37, v37, 2.0, -v11
	v_sub_f32_e32 v11, v43, v30
	v_sub_f32_e32 v33, v23, v42
	v_fmac_f32_e32 v7, 0xbf3504f3, v32
	v_fma_f32 v71, v25, 2.0, -v60
	v_fmamk_f32 v25, v59, 0x3f3504f3, v46
	v_fmamk_f32 v20, v0, 0x3f6c835e, v45
	v_fma_f32 v30, v54, 2.0, -v44
	v_fma_f32 v9, v29, 2.0, -v4
	;; [unrolled: 1-line block ×3, first 2 shown]
	v_fmamk_f32 v29, v61, 0xbf3504f3, v52
	v_fmamk_f32 v32, v10, 0xbec3ef15, v47
	v_sub_f32_e32 v42, v40, v37
	v_fma_f32 v31, v43, 2.0, -v11
	v_fmamk_f32 v43, v4, 0x3ec3ef15, v44
	v_fma_f32 v23, v23, 2.0, -v33
	v_fma_f32 v37, v41, 2.0, -v7
	v_fmac_f32_e32 v25, 0x3f3504f3, v60
	v_fmac_f32_e32 v20, 0x3ec3ef15, v6
	v_fmamk_f32 v53, v9, 0xbf6c835e, v30
	v_fmac_f32_e32 v29, 0x3f3504f3, v71
	v_fmac_f32_e32 v32, 0x3f6c835e, v14
	v_add_f32_e32 v41, v33, v42
	v_fmac_f32_e32 v43, 0x3f6c835e, v7
	v_sub_f32_e32 v31, v23, v31
	v_fma_f32 v46, v46, 2.0, -v25
	v_fma_f32 v45, v45, 2.0, -v20
	v_fmac_f32_e32 v53, 0x3ec3ef15, v37
	ds_write2_b32 v70, v25, v20 offset0:94 offset1:119
	v_fma_f32 v25, v52, 2.0, -v29
	v_fma_f32 v47, v47, 2.0, -v32
	;; [unrolled: 1-line block ×5, first 2 shown]
	ds_write2_b32 v36, v46, v45 offset0:150 offset1:175
	ds_write2_b32 v27, v29, v32 offset0:122 offset1:147
	v_fma_f32 v27, v30, 2.0, -v53
	ds_write2_b32 v70, v41, v43 offset0:44 offset1:69
	ds_write2_b32 v36, v25, v47 offset0:50 offset1:75
	;; [unrolled: 1-line block ×4, first 2 shown]
	ds_write2_b32 v36, v23, v27 offset1:25
	s_waitcnt lgkmcnt(0)
	s_barrier
	buffer_gl0_inv
	ds_read2_b32 v[22:23], v22 offset0:144 offset1:219
	ds_read2_b32 v[32:33], v15 offset0:60 offset1:160
	;; [unrolled: 1-line block ×3, first 2 shown]
	ds_read_b32 v54, v67
	ds_read_b32 v52, v68
	ds_read_b32 v53, v69
	ds_read2_b32 v[28:29], v28 offset0:38 offset1:113
	ds_read2_b32 v[26:27], v26 offset0:97 offset1:172
	;; [unrolled: 1-line block ×3, first 2 shown]
	v_mul_f32_e32 v45, 0x3f3504f3, v55
	v_mul_f32_e32 v55, 0x3f3504f3, v58
	;; [unrolled: 1-line block ×8, first 2 shown]
	s_and_saveexec_b32 s1, s0
	s_cbranch_execz .LBB0_28
; %bb.27:
	ds_read_b32 v20, v66 offset:1500
	ds_read_b32 v48, v66 offset:3100
	ds_read_b32 v49, v66 offset:4700
.LBB0_28:
	s_or_b32 exec_lo, exec_lo, s1
	v_mul_f32_e32 v3, v5, v3
	v_fma_f32 v5, v38, 2.0, -v39
	s_waitcnt lgkmcnt(0)
	s_barrier
	buffer_gl0_inv
	v_fma_f32 v2, v34, v2, -v3
	v_fma_f32 v3, v21, 2.0, -v13
	v_fma_f32 v34, v40, 2.0, -v42
	v_add_nc_u32_e32 v40, 0x400, v36
	v_sub_f32_e32 v2, v35, v2
	v_fma_f32 v13, v35, 2.0, -v2
	v_sub_f32_e32 v8, v2, v8
	v_add_nc_u32_e32 v35, 0x200, v36
	v_sub_f32_e32 v3, v13, v3
	v_fma_f32 v2, v2, 2.0, -v8
	v_add_f32_e32 v21, v8, v56
	v_fma_f32 v13, v13, 2.0, -v3
	v_sub_f32_e32 v38, v2, v55
	v_sub_f32_e32 v1, v3, v1
	;; [unrolled: 1-line block ×5, first 2 shown]
	v_fma_f32 v3, v3, 2.0, -v1
	v_fma_f32 v8, v8, 2.0, -v39
	v_add_f32_e32 v42, v1, v46
	v_fmamk_f32 v21, v6, 0x3f6c835e, v39
	v_fma_f32 v6, v13, 2.0, -v5
	v_fma_f32 v2, v2, 2.0, -v38
	v_sub_f32_e32 v13, v3, v44
	v_fmamk_f32 v14, v14, 0xbec3ef15, v8
	v_fmamk_f32 v7, v7, 0x3ec3ef15, v38
	v_sub_f32_e32 v42, v42, v43
	v_fmac_f32_e32 v21, 0xbec3ef15, v0
	v_sub_f32_e32 v0, v6, v34
	v_fmamk_f32 v34, v37, 0xbf6c835e, v2
	v_sub_f32_e32 v13, v13, v41
	v_fmac_f32_e32 v14, 0xbf6c835e, v10
	v_sub_f32_e32 v11, v5, v11
	v_fmac_f32_e32 v7, 0xbf6c835e, v4
	v_fma_f32 v1, v1, 2.0, -v42
	v_fma_f32 v4, v39, 2.0, -v21
	v_fmac_f32_e32 v34, 0xbec3ef15, v9
	v_fma_f32 v3, v3, 2.0, -v13
	v_fma_f32 v8, v8, 2.0, -v14
	;; [unrolled: 1-line block ×4, first 2 shown]
	ds_write2_b32 v40, v42, v21 offset0:94 offset1:119
	v_fma_f32 v6, v6, 2.0, -v0
	ds_write2_b32 v36, v1, v4 offset0:150 offset1:175
	ds_write2_b32 v35, v13, v14 offset0:122 offset1:147
	v_fma_f32 v1, v2, 2.0, -v34
	ds_write2_b32 v40, v11, v7 offset0:44 offset1:69
	ds_write2_b32 v36, v3, v8 offset0:50 offset1:75
	ds_write2_b32 v36, v5, v9 offset0:100 offset1:125
	ds_write2_b32 v36, v0, v34 offset0:200 offset1:225
	ds_write2_b32 v36, v6, v1 offset1:25
	v_add_nc_u32_e32 v0, 0x400, v66
	v_add_nc_u32_e32 v1, 0xc00, v66
	s_waitcnt lgkmcnt(0)
	s_barrier
	buffer_gl0_inv
	ds_read2_b32 v[36:37], v0 offset0:144 offset1:219
	ds_read2_b32 v[44:45], v15 offset0:60 offset1:160
	ds_read2_b32 v[38:39], v1 offset0:107 offset1:182
	v_add_nc_u32_e32 v0, 0x800, v66
	v_add_nc_u32_e32 v1, 0x200, v66
	ds_read_b32 v57, v67
	ds_read_b32 v55, v68
	;; [unrolled: 1-line block ×3, first 2 shown]
	ds_read2_b32 v[42:43], v0 offset0:38 offset1:113
	ds_read2_b32 v[40:41], v1 offset0:97 offset1:172
	;; [unrolled: 1-line block ×3, first 2 shown]
	s_and_saveexec_b32 s1, s0
	s_cbranch_execz .LBB0_30
; %bb.29:
	ds_read_b32 v21, v66 offset:1500
	ds_read_b32 v50, v66 offset:3100
	;; [unrolled: 1-line block ×3, first 2 shown]
.LBB0_30:
	s_or_b32 exec_lo, exec_lo, s1
	s_and_saveexec_b32 s1, vcc_lo
	s_cbranch_execz .LBB0_33
; %bb.31:
	v_lshlrev_b32_e32 v0, 1, v62
	v_mov_b32_e32 v35, 0
	v_add_nc_u32_e32 v66, 0x96, v62
	v_add_nc_u32_e32 v67, 0xe1, v62
	;; [unrolled: 1-line block ×4, first 2 shown]
	v_mov_b32_e32 v1, v35
	v_mul_hi_u32 v70, 0x51eb851f, v66
	v_mul_hi_u32 v71, 0x51eb851f, v67
	v_lshlrev_b64 v[16:17], 3, v[16:17]
	v_lshlrev_b64 v[2:3], 3, v[34:35]
	;; [unrolled: 1-line block ×3, first 2 shown]
	v_lshlrev_b32_e32 v34, 1, v65
	v_mul_hi_u32 v65, 0x51eb851f, v62
	v_add_co_u32 v2, vcc_lo, s8, v2
	v_add_co_ci_u32_e32 v3, vcc_lo, s9, v3, vcc_lo
	v_add_co_u32 v6, vcc_lo, s8, v0
	v_add_co_ci_u32_e32 v7, vcc_lo, s9, v1, vcc_lo
	v_lshlrev_b64 v[4:5], 3, v[34:35]
	v_add_co_u32 v0, vcc_lo, 0x800, v2
	v_add_co_ci_u32_e32 v1, vcc_lo, 0, v3, vcc_lo
	v_lshlrev_b32_e32 v34, 1, v64
	v_add_co_u32 v6, vcc_lo, 0x800, v6
	v_add_co_ci_u32_e32 v7, vcc_lo, 0, v7, vcc_lo
	v_add_co_u32 v10, vcc_lo, s8, v4
	v_add_co_ci_u32_e32 v11, vcc_lo, s9, v5, vcc_lo
	v_lshlrev_b64 v[8:9], 3, v[34:35]
	v_add_co_u32 v10, vcc_lo, 0x800, v10
	v_lshlrev_b32_e32 v34, 1, v63
	v_add_co_ci_u32_e32 v11, vcc_lo, 0, v11, vcc_lo
	v_add_co_u32 v12, vcc_lo, s8, v8
	v_add_co_ci_u32_e32 v13, vcc_lo, s9, v9, vcc_lo
	v_lshlrev_b64 v[58:59], 3, v[34:35]
	s_clause 0x1
	global_load_dwordx4 v[0:3], v[0:1], off offset:1112
	global_load_dwordx4 v[4:7], v[6:7], off offset:1112
	v_add_co_u32 v12, vcc_lo, 0x800, v12
	v_add_co_ci_u32_e32 v13, vcc_lo, 0, v13, vcc_lo
	v_add_co_u32 v34, vcc_lo, s8, v58
	s_clause 0x1
	global_load_dwordx4 v[8:11], v[10:11], off offset:1112
	global_load_dwordx4 v[12:15], v[12:13], off offset:1112
	v_add_co_ci_u32_e32 v59, vcc_lo, s9, v59, vcc_lo
	v_add_co_u32 v58, vcc_lo, 0x800, v34
	v_add_nc_u32_e32 v64, 0x4b, v62
	v_add_co_ci_u32_e32 v59, vcc_lo, 0, v59, vcc_lo
	v_mul_lo_u32 v34, s5, v18
	v_mul_lo_u32 v63, s4, v19
	v_mad_u64_u32 v[18:19], null, s4, v18, 0
	global_load_dwordx4 v[58:61], v[58:59], off offset:1112
	v_mul_hi_u32 v69, 0x51eb851f, v64
	v_lshrrev_b32_e32 v65, 7, v65
	v_add3_u32 v19, v19, v63, v34
	v_mul_hi_u32 v34, 0x51eb851f, v68
	v_mul_u32_u24_e32 v63, 0x190, v65
	v_lshrrev_b32_e32 v65, 7, v69
	v_lshrrev_b32_e32 v69, 7, v70
	;; [unrolled: 1-line block ×3, first 2 shown]
	v_lshlrev_b64 v[18:19], 3, v[18:19]
	v_sub_nc_u32_e32 v75, v62, v63
	v_mul_u32_u24_e32 v63, 0x190, v65
	v_lshrrev_b32_e32 v34, 7, v34
	v_mul_u32_u24_e32 v71, 0x190, v69
	v_mul_u32_u24_e32 v72, 0x190, v70
	v_add_nc_u32_e32 v90, 0x190, v75
	v_sub_nc_u32_e32 v63, v64, v63
	v_mul_u32_u24_e32 v73, 0x190, v34
	v_sub_nc_u32_e32 v64, v66, v71
	v_sub_nc_u32_e32 v66, v67, v72
	v_add_nc_u32_e32 v92, 0x320, v75
	v_add_co_u32 v74, vcc_lo, s14, v18
	v_add_co_ci_u32_e32 v76, vcc_lo, s15, v19, vcc_lo
	v_mad_u64_u32 v[18:19], null, s2, v75, 0
	v_sub_nc_u32_e32 v67, v68, v73
	v_mad_u32_u24 v93, 0x4b0, v65, v63
	v_mad_u32_u24 v94, 0x4b0, v69, v64
	v_mad_u64_u32 v[63:64], null, s2, v90, 0
	v_mad_u32_u24 v95, 0x4b0, v70, v66
	v_mad_u64_u32 v[65:66], null, s2, v92, 0
	v_mad_u32_u24 v100, 0x4b0, v34, v67
	v_add_co_u32 v16, vcc_lo, v74, v16
	v_add_nc_u32_e32 v96, 0x190, v93
	v_mad_u64_u32 v[67:68], null, s2, v93, 0
	v_add_co_ci_u32_e32 v17, vcc_lo, v76, v17, vcc_lo
	v_add_nc_u32_e32 v97, 0x320, v93
	v_mad_u64_u32 v[69:70], null, s2, v94, 0
	v_mad_u64_u32 v[75:76], null, s3, v75, v[19:20]
	v_mov_b32_e32 v19, v64
	v_add_nc_u32_e32 v98, 0x190, v94
	v_mad_u64_u32 v[71:72], null, s2, v95, 0
	v_mov_b32_e32 v34, v66
	v_mad_u64_u32 v[73:74], null, s2, v100, 0
	v_add_nc_u32_e32 v99, 0x320, v94
	v_add_nc_u32_e32 v101, 0x190, v95
	v_mad_u64_u32 v[76:77], null, s2, v96, 0
	v_mad_u64_u32 v[78:79], null, s2, v97, 0
	;; [unrolled: 1-line block ×5, first 2 shown]
	v_mov_b32_e32 v34, v68
	v_add_nc_u32_e32 v102, 0x320, v95
	v_mad_u64_u32 v[82:83], null, s2, v99, 0
	v_add_nc_u32_e32 v103, 0x190, v100
	v_mad_u64_u32 v[84:85], null, s2, v101, 0
	v_mov_b32_e32 v64, v70
	v_mov_b32_e32 v66, v72
	;; [unrolled: 1-line block ×4, first 2 shown]
	v_mad_u64_u32 v[74:75], null, s3, v93, v[34:35]
	v_mov_b32_e32 v34, v77
	v_mad_u64_u32 v[86:87], null, s2, v102, 0
	v_mad_u64_u32 v[88:89], null, s2, v103, 0
	;; [unrolled: 1-line block ×3, first 2 shown]
	v_mov_b32_e32 v70, v79
	v_mov_b32_e32 v72, v81
	v_mad_u64_u32 v[93:94], null, s3, v95, v[66:67]
	v_mad_u64_u32 v[94:95], null, s3, v100, v[68:69]
	v_mov_b32_e32 v68, v83
	v_mov_b32_e32 v64, v90
	;; [unrolled: 1-line block ×3, first 2 shown]
	v_mad_u64_u32 v[90:91], null, s3, v96, v[34:35]
	v_mov_b32_e32 v34, v85
	v_mad_u64_u32 v[95:96], null, s3, v97, v[70:71]
	v_mad_u64_u32 v[96:97], null, s3, v98, v[72:73]
	v_mov_b32_e32 v70, v87
	v_mad_u64_u32 v[97:98], null, s3, v99, v[68:69]
	v_mad_u64_u32 v[98:99], null, s3, v101, v[34:35]
	v_mov_b32_e32 v34, v89
	v_add_nc_u32_e32 v72, 0x320, v100
	v_mad_u64_u32 v[99:100], null, s3, v102, v[70:71]
	v_lshlrev_b64 v[18:19], 3, v[18:19]
	v_mad_u64_u32 v[100:101], null, s3, v103, v[34:35]
	v_mad_u64_u32 v[101:102], null, s2, v72, 0
	v_lshlrev_b64 v[63:64], 3, v[63:64]
	v_mov_b32_e32 v68, v74
	v_lshlrev_b64 v[65:66], 3, v[65:66]
	v_add_co_u32 v18, vcc_lo, v16, v18
	v_mov_b32_e32 v70, v92
	v_mov_b32_e32 v34, v102
	v_add_co_ci_u32_e32 v19, vcc_lo, v17, v19, vcc_lo
	v_lshlrev_b64 v[67:68], 3, v[67:68]
	v_add_co_u32 v63, vcc_lo, v16, v63
	v_mad_u64_u32 v[102:103], null, s3, v72, v[34:35]
	v_mov_b32_e32 v72, v93
	v_add_co_ci_u32_e32 v64, vcc_lo, v17, v64, vcc_lo
	v_lshlrev_b64 v[69:70], 3, v[69:70]
	v_add_co_u32 v65, vcc_lo, v16, v65
	v_mov_b32_e32 v74, v94
	v_add_co_ci_u32_e32 v66, vcc_lo, v17, v66, vcc_lo
	v_lshlrev_b64 v[71:72], 3, v[71:72]
	v_add_co_u32 v67, vcc_lo, v16, v67
	;; [unrolled: 4-line block ×9, first 2 shown]
	v_add_co_ci_u32_e32 v82, vcc_lo, v17, v82, vcc_lo
	v_lshlrev_b64 v[87:88], 3, v[88:89]
	v_add_co_u32 v83, vcc_lo, v16, v83
	v_add_co_ci_u32_e32 v84, vcc_lo, v17, v84, vcc_lo
	v_lshlrev_b64 v[89:90], 3, v[101:102]
	v_add_co_u32 v85, vcc_lo, v16, v85
	v_add_co_ci_u32_e32 v86, vcc_lo, v17, v86, vcc_lo
	s_waitcnt vmcnt(4)
	v_mul_f32_e32 v34, v32, v1
	v_mul_f32_e32 v91, v31, v3
	s_waitcnt lgkmcnt(7)
	v_mul_f32_e32 v1, v44, v1
	s_waitcnt lgkmcnt(0)
	v_mul_f32_e32 v3, v47, v3
	s_waitcnt vmcnt(3)
	v_mul_f32_e32 v92, v33, v7
	v_mul_f32_e32 v7, v45, v7
	;; [unrolled: 1-line block ×4, first 2 shown]
	v_fma_f32 v34, v44, v0, -v34
	v_fma_f32 v44, v47, v2, -v91
	v_fmac_f32_e32 v1, v32, v0
	v_fmac_f32_e32 v3, v31, v2
	s_waitcnt vmcnt(2)
	v_mul_f32_e32 v2, v30, v11
	v_mul_f32_e32 v31, v29, v9
	;; [unrolled: 1-line block ×4, first 2 shown]
	v_fma_f32 v0, v45, v6, -v92
	v_fmac_f32_e32 v7, v33, v6
	v_fma_f32 v6, v36, v4, -v93
	v_fmac_f32_e32 v5, v22, v4
	v_fma_f32 v22, v46, v10, -v2
	v_fma_f32 v11, v43, v8, -v31
	v_fmac_f32_e32 v9, v29, v8
	v_fmac_f32_e32 v32, v30, v10
	s_waitcnt vmcnt(1)
	v_mul_f32_e32 v2, v28, v13
	v_mul_f32_e32 v4, v25, v15
	;; [unrolled: 1-line block ×4, first 2 shown]
	v_add_f32_e32 v8, v27, v1
	v_add_f32_e32 v13, v34, v44
	;; [unrolled: 1-line block ×4, first 2 shown]
	v_sub_f32_e32 v30, v1, v3
	v_sub_f32_e32 v33, v34, v44
	v_add_f32_e32 v34, v6, v0
	v_add_f32_e32 v36, v5, v7
	;; [unrolled: 1-line block ×4, first 2 shown]
	v_fma_f32 v42, v42, v12, -v2
	v_fma_f32 v39, v39, v14, -v4
	v_fmac_f32_e32 v29, v28, v12
	v_fmac_f32_e32 v15, v25, v14
	s_waitcnt vmcnt(0)
	v_mul_f32_e32 v12, v23, v59
	v_mul_f32_e32 v14, v24, v61
	v_mul_f32_e32 v28, v37, v59
	v_mul_f32_e32 v59, v38, v61
	v_add_f32_e32 v1, v8, v3
	v_fma_f32 v4, -0.5, v13, v41
	v_fma_f32 v3, -0.5, v31, v27
	v_add_f32_e32 v13, v40, v11
	v_add_f32_e32 v25, v9, v32
	;; [unrolled: 1-line block ×5, first 2 shown]
	v_sub_f32_e32 v46, v5, v7
	v_sub_f32_e32 v47, v6, v0
	v_fma_f32 v6, -0.5, v34, v57
	v_fma_f32 v5, -0.5, v36, v54
	v_sub_f32_e32 v31, v9, v32
	v_add_f32_e32 v8, v43, v0
	v_add_f32_e32 v7, v45, v7
	v_fma_f32 v0, v37, v58, -v12
	v_fma_f32 v36, v38, v60, -v14
	v_fmac_f32_e32 v28, v23, v58
	v_fmac_f32_e32 v59, v24, v60
	v_fma_f32 v9, -0.5, v25, v26
	v_add_f32_e32 v14, v13, v22
	v_add_f32_e32 v13, v27, v32
	;; [unrolled: 1-line block ×6, first 2 shown]
	v_fma_f32 v10, -0.5, v10, v40
	v_sub_f32_e32 v34, v11, v22
	v_fmamk_f32 v12, v30, 0xbf5db3d7, v4
	v_fmac_f32_e32 v4, 0x3f5db3d7, v30
	v_sub_f32_e32 v30, v29, v15
	v_fmamk_f32 v23, v46, 0xbf5db3d7, v6
	v_fmac_f32_e32 v6, 0x3f5db3d7, v46
	v_fmamk_f32 v22, v47, 0x3f5db3d7, v5
	v_fmac_f32_e32 v5, 0xbf5db3d7, v47
	global_store_dwordx2 v[18:19], v[7:8], off
	v_fma_f32 v19, -0.5, v24, v56
	v_fma_f32 v18, -0.5, v25, v53
	v_add_f32_e32 v25, v26, v39
	v_add_f32_e32 v24, v27, v15
	v_add_f32_e32 v15, v0, v36
	v_add_f32_e32 v26, v28, v59
	v_fmamk_f32 v11, v33, 0x3f5db3d7, v3
	v_fmac_f32_e32 v3, 0xbf5db3d7, v33
	v_fmamk_f32 v8, v31, 0xbf5db3d7, v10
	v_fmac_f32_e32 v10, 0x3f5db3d7, v31
	v_sub_f32_e32 v31, v28, v59
	v_sub_f32_e32 v33, v0, v36
	v_add_f32_e32 v0, v55, v0
	v_add_f32_e32 v28, v52, v28
	global_store_dwordx2 v[63:64], v[5:6], off
	global_store_dwordx2 v[65:66], v[22:23], off
	v_fma_f32 v6, -0.5, v15, v55
	v_fma_f32 v5, -0.5, v26, v52
	v_sub_f32_e32 v32, v42, v39
	v_add_f32_e32 v27, v0, v36
	v_add_f32_e32 v26, v28, v59
	v_fmamk_f32 v29, v31, 0xbf5db3d7, v6
	v_fmamk_f32 v28, v33, 0x3f5db3d7, v5
	v_fmac_f32_e32 v6, 0x3f5db3d7, v31
	v_fmac_f32_e32 v5, 0xbf5db3d7, v33
	v_fmamk_f32 v23, v30, 0xbf5db3d7, v19
	v_fmamk_f32 v22, v32, 0x3f5db3d7, v18
	v_fmac_f32_e32 v19, 0x3f5db3d7, v30
	v_fmac_f32_e32 v18, 0xbf5db3d7, v32
	v_fmamk_f32 v7, v34, 0x3f5db3d7, v9
	v_fmac_f32_e32 v9, 0xbf5db3d7, v34
	global_store_dwordx2 v[67:68], v[26:27], off
	global_store_dwordx2 v[75:76], v[5:6], off
	;; [unrolled: 1-line block ×8, first 2 shown]
	v_add_co_u32 v5, vcc_lo, v16, v87
	v_add_nc_u32_e32 v0, 0x177, v62
	v_add_co_ci_u32_e32 v6, vcc_lo, v17, v88, vcc_lo
	v_add_co_u32 v9, vcc_lo, v16, v89
	v_add_co_ci_u32_e32 v10, vcc_lo, v17, v90, vcc_lo
	v_cmp_gt_u32_e32 vcc_lo, 0x190, v0
	global_store_dwordx2 v[85:86], v[7:8], off
	global_store_dwordx2 v[73:74], v[1:2], off
	;; [unrolled: 1-line block ×4, first 2 shown]
	s_and_b32 exec_lo, exec_lo, vcc_lo
	s_cbranch_execz .LBB0_33
; %bb.32:
	v_mov_b32_e32 v1, 0x177
	v_add_nc_u32_e32 v13, 0x307, v62
	v_add_nc_u32_e32 v14, 0x497, v62
	v_mad_u64_u32 v[5:6], null, s2, v0, 0
	v_cndmask_b32_e64 v1, 0xffffffe7, v1, s0
	v_mad_u64_u32 v[7:8], null, s2, v13, 0
	v_mad_u64_u32 v[9:10], null, s2, v14, 0
	v_add_lshl_u32 v34, v62, v1, 1
	v_mad_u64_u32 v[11:12], null, s3, v0, v[6:7]
	v_lshlrev_b64 v[1:2], 3, v[34:35]
	v_mad_u64_u32 v[12:13], null, s3, v13, v[8:9]
	v_add_co_u32 v1, vcc_lo, s8, v1
	v_add_co_ci_u32_e32 v2, vcc_lo, s9, v2, vcc_lo
	v_mad_u64_u32 v[13:14], null, s3, v14, v[10:11]
	v_add_co_u32 v1, vcc_lo, 0x800, v1
	v_add_co_ci_u32_e32 v2, vcc_lo, 0, v2, vcc_lo
	v_mov_b32_e32 v6, v11
	v_mov_b32_e32 v8, v12
	;; [unrolled: 1-line block ×3, first 2 shown]
	global_load_dwordx4 v[1:4], v[1:2], off offset:1112
	v_lshlrev_b64 v[5:6], 3, v[5:6]
	v_lshlrev_b64 v[7:8], 3, v[7:8]
	;; [unrolled: 1-line block ×3, first 2 shown]
	v_add_co_u32 v5, vcc_lo, v16, v5
	v_add_co_ci_u32_e32 v6, vcc_lo, v17, v6, vcc_lo
	v_add_co_u32 v7, vcc_lo, v16, v7
	v_add_co_ci_u32_e32 v8, vcc_lo, v17, v8, vcc_lo
	s_waitcnt vmcnt(0)
	v_mul_f32_e32 v11, v50, v2
	v_mul_f32_e32 v0, v48, v2
	;; [unrolled: 1-line block ×4, first 2 shown]
	v_fmac_f32_e32 v11, v48, v1
	v_fma_f32 v12, v50, v1, -v0
	v_fmac_f32_e32 v2, v49, v3
	v_fma_f32 v3, v51, v3, -v4
	v_add_co_u32 v0, vcc_lo, v16, v9
	v_add_co_ci_u32_e32 v1, vcc_lo, v17, v10, vcc_lo
	v_add_f32_e32 v4, v11, v2
	v_add_f32_e32 v10, v12, v3
	;; [unrolled: 1-line block ×3, first 2 shown]
	v_sub_f32_e32 v13, v12, v3
	v_add_f32_e32 v12, v21, v12
	v_fmac_f32_e32 v20, -0.5, v4
	v_sub_f32_e32 v4, v11, v2
	v_fmac_f32_e32 v21, -0.5, v10
	v_add_f32_e32 v2, v9, v2
	v_add_f32_e32 v3, v12, v3
	v_fmamk_f32 v9, v13, 0xbf5db3d7, v20
	v_fmac_f32_e32 v20, 0x3f5db3d7, v13
	v_fmamk_f32 v10, v4, 0x3f5db3d7, v21
	v_fmac_f32_e32 v21, 0xbf5db3d7, v4
	global_store_dwordx2 v[5:6], v[2:3], off
	global_store_dwordx2 v[7:8], v[9:10], off
	;; [unrolled: 1-line block ×3, first 2 shown]
.LBB0_33:
	s_endpgm
	.section	.rodata,"a",@progbits
	.p2align	6, 0x0
	.amdhsa_kernel fft_rtc_back_len1200_factors_5_5_16_3_wgs_225_tpt_75_halfLds_sp_op_CI_CI_sbrr_dirReg
		.amdhsa_group_segment_fixed_size 0
		.amdhsa_private_segment_fixed_size 0
		.amdhsa_kernarg_size 104
		.amdhsa_user_sgpr_count 6
		.amdhsa_user_sgpr_private_segment_buffer 1
		.amdhsa_user_sgpr_dispatch_ptr 0
		.amdhsa_user_sgpr_queue_ptr 0
		.amdhsa_user_sgpr_kernarg_segment_ptr 1
		.amdhsa_user_sgpr_dispatch_id 0
		.amdhsa_user_sgpr_flat_scratch_init 0
		.amdhsa_user_sgpr_private_segment_size 0
		.amdhsa_wavefront_size32 1
		.amdhsa_uses_dynamic_stack 0
		.amdhsa_system_sgpr_private_segment_wavefront_offset 0
		.amdhsa_system_sgpr_workgroup_id_x 1
		.amdhsa_system_sgpr_workgroup_id_y 0
		.amdhsa_system_sgpr_workgroup_id_z 0
		.amdhsa_system_sgpr_workgroup_info 0
		.amdhsa_system_vgpr_workitem_id 0
		.amdhsa_next_free_vgpr 104
		.amdhsa_next_free_sgpr 31
		.amdhsa_reserve_vcc 1
		.amdhsa_reserve_flat_scratch 0
		.amdhsa_float_round_mode_32 0
		.amdhsa_float_round_mode_16_64 0
		.amdhsa_float_denorm_mode_32 3
		.amdhsa_float_denorm_mode_16_64 3
		.amdhsa_dx10_clamp 1
		.amdhsa_ieee_mode 1
		.amdhsa_fp16_overflow 0
		.amdhsa_workgroup_processor_mode 1
		.amdhsa_memory_ordered 1
		.amdhsa_forward_progress 0
		.amdhsa_shared_vgpr_count 0
		.amdhsa_exception_fp_ieee_invalid_op 0
		.amdhsa_exception_fp_denorm_src 0
		.amdhsa_exception_fp_ieee_div_zero 0
		.amdhsa_exception_fp_ieee_overflow 0
		.amdhsa_exception_fp_ieee_underflow 0
		.amdhsa_exception_fp_ieee_inexact 0
		.amdhsa_exception_int_div_zero 0
	.end_amdhsa_kernel
	.text
.Lfunc_end0:
	.size	fft_rtc_back_len1200_factors_5_5_16_3_wgs_225_tpt_75_halfLds_sp_op_CI_CI_sbrr_dirReg, .Lfunc_end0-fft_rtc_back_len1200_factors_5_5_16_3_wgs_225_tpt_75_halfLds_sp_op_CI_CI_sbrr_dirReg
                                        ; -- End function
	.section	.AMDGPU.csdata,"",@progbits
; Kernel info:
; codeLenInByte = 11864
; NumSgprs: 33
; NumVgprs: 104
; ScratchSize: 0
; MemoryBound: 0
; FloatMode: 240
; IeeeMode: 1
; LDSByteSize: 0 bytes/workgroup (compile time only)
; SGPRBlocks: 4
; VGPRBlocks: 12
; NumSGPRsForWavesPerEU: 33
; NumVGPRsForWavesPerEU: 104
; Occupancy: 9
; WaveLimiterHint : 1
; COMPUTE_PGM_RSRC2:SCRATCH_EN: 0
; COMPUTE_PGM_RSRC2:USER_SGPR: 6
; COMPUTE_PGM_RSRC2:TRAP_HANDLER: 0
; COMPUTE_PGM_RSRC2:TGID_X_EN: 1
; COMPUTE_PGM_RSRC2:TGID_Y_EN: 0
; COMPUTE_PGM_RSRC2:TGID_Z_EN: 0
; COMPUTE_PGM_RSRC2:TIDIG_COMP_CNT: 0
	.text
	.p2alignl 6, 3214868480
	.fill 48, 4, 3214868480
	.type	__hip_cuid_3f48348070dd1ef7,@object ; @__hip_cuid_3f48348070dd1ef7
	.section	.bss,"aw",@nobits
	.globl	__hip_cuid_3f48348070dd1ef7
__hip_cuid_3f48348070dd1ef7:
	.byte	0                               ; 0x0
	.size	__hip_cuid_3f48348070dd1ef7, 1

	.ident	"AMD clang version 19.0.0git (https://github.com/RadeonOpenCompute/llvm-project roc-6.4.0 25133 c7fe45cf4b819c5991fe208aaa96edf142730f1d)"
	.section	".note.GNU-stack","",@progbits
	.addrsig
	.addrsig_sym __hip_cuid_3f48348070dd1ef7
	.amdgpu_metadata
---
amdhsa.kernels:
  - .args:
      - .actual_access:  read_only
        .address_space:  global
        .offset:         0
        .size:           8
        .value_kind:     global_buffer
      - .offset:         8
        .size:           8
        .value_kind:     by_value
      - .actual_access:  read_only
        .address_space:  global
        .offset:         16
        .size:           8
        .value_kind:     global_buffer
      - .actual_access:  read_only
        .address_space:  global
        .offset:         24
        .size:           8
        .value_kind:     global_buffer
      - .actual_access:  read_only
        .address_space:  global
        .offset:         32
        .size:           8
        .value_kind:     global_buffer
      - .offset:         40
        .size:           8
        .value_kind:     by_value
      - .actual_access:  read_only
        .address_space:  global
        .offset:         48
        .size:           8
        .value_kind:     global_buffer
      - .actual_access:  read_only
        .address_space:  global
        .offset:         56
        .size:           8
        .value_kind:     global_buffer
      - .offset:         64
        .size:           4
        .value_kind:     by_value
      - .actual_access:  read_only
        .address_space:  global
        .offset:         72
        .size:           8
        .value_kind:     global_buffer
      - .actual_access:  read_only
        .address_space:  global
        .offset:         80
        .size:           8
        .value_kind:     global_buffer
      - .actual_access:  read_only
        .address_space:  global
        .offset:         88
        .size:           8
        .value_kind:     global_buffer
      - .actual_access:  write_only
        .address_space:  global
        .offset:         96
        .size:           8
        .value_kind:     global_buffer
    .group_segment_fixed_size: 0
    .kernarg_segment_align: 8
    .kernarg_segment_size: 104
    .language:       OpenCL C
    .language_version:
      - 2
      - 0
    .max_flat_workgroup_size: 225
    .name:           fft_rtc_back_len1200_factors_5_5_16_3_wgs_225_tpt_75_halfLds_sp_op_CI_CI_sbrr_dirReg
    .private_segment_fixed_size: 0
    .sgpr_count:     33
    .sgpr_spill_count: 0
    .symbol:         fft_rtc_back_len1200_factors_5_5_16_3_wgs_225_tpt_75_halfLds_sp_op_CI_CI_sbrr_dirReg.kd
    .uniform_work_group_size: 1
    .uses_dynamic_stack: false
    .vgpr_count:     104
    .vgpr_spill_count: 0
    .wavefront_size: 32
    .workgroup_processor_mode: 1
amdhsa.target:   amdgcn-amd-amdhsa--gfx1030
amdhsa.version:
  - 1
  - 2
...

	.end_amdgpu_metadata
